;; amdgpu-corpus repo=ROCm/rocFFT kind=compiled arch=gfx1100 opt=O3
	.text
	.amdgcn_target "amdgcn-amd-amdhsa--gfx1100"
	.amdhsa_code_object_version 6
	.protected	fft_rtc_fwd_len289_factors_17_17_wgs_119_tpt_17_dp_op_CI_CI_sbrc_xy_z_diag ; -- Begin function fft_rtc_fwd_len289_factors_17_17_wgs_119_tpt_17_dp_op_CI_CI_sbrc_xy_z_diag
	.globl	fft_rtc_fwd_len289_factors_17_17_wgs_119_tpt_17_dp_op_CI_CI_sbrc_xy_z_diag
	.p2align	8
	.type	fft_rtc_fwd_len289_factors_17_17_wgs_119_tpt_17_dp_op_CI_CI_sbrc_xy_z_diag,@function
fft_rtc_fwd_len289_factors_17_17_wgs_119_tpt_17_dp_op_CI_CI_sbrc_xy_z_diag: ; @fft_rtc_fwd_len289_factors_17_17_wgs_119_tpt_17_dp_op_CI_CI_sbrc_xy_z_diag
; %bb.0:
	s_load_b256 s[4:11], s[0:1], 0x0
	s_mov_b32 s44, 0x2a9d6da3
	s_mov_b32 s36, 0x4363dd80
	;; [unrolled: 1-line block ×19, first 2 shown]
	s_waitcnt lgkmcnt(0)
	s_load_b128 s[16:19], s[8:9], 0x8
	s_clause 0x1
	s_load_b64 s[12:13], s[0:1], 0x20
	s_load_b128 s[0:3], s[0:1], 0x58
	s_mov_b32 s9, 0
	s_mov_b32 s60, s36
	;; [unrolled: 1-line block ×16, first 2 shown]
	s_waitcnt lgkmcnt(0)
	s_add_i32 s8, s18, -1
	s_delay_alu instid0(SALU_CYCLE_1) | instskip(NEXT) | instid1(SALU_CYCLE_1)
	s_mul_hi_u32 s14, s8, 0x24924925
	s_sub_i32 s8, s8, s14
	s_delay_alu instid0(SALU_CYCLE_1) | instskip(NEXT) | instid1(SALU_CYCLE_1)
	s_lshr_b32 s8, s8, 1
	s_add_i32 s8, s8, s14
	s_load_b32 s14, s[10:11], 0x10
	s_lshr_b32 s8, s8, 2
	s_delay_alu instid0(SALU_CYCLE_1) | instskip(NEXT) | instid1(SALU_CYCLE_1)
	s_add_i32 s8, s8, 1
	s_mul_i32 s8, s8, s16
	s_load_b128 s[20:23], s[10:11], 0x0
	s_load_b128 s[16:19], s[12:13], 0x0
	v_cvt_f32_u32_e32 v10, s8
	s_sub_i32 s24, 0, s8
	s_waitcnt lgkmcnt(0)
	s_load_b32 s19, s[12:13], 0x10
	s_delay_alu instid0(VALU_DEP_1) | instskip(SKIP_2) | instid1(VALU_DEP_1)
	v_rcp_iflag_f32_e32 v10, v10
	s_waitcnt_depctr 0xfff
	v_dual_mov_b32 v255, v0 :: v_dual_mul_f32 v10, 0x4f7ffffe, v10
	v_add_nc_u32_e32 v5, 0x2ca, v255
	v_add_nc_u32_e32 v6, 0x341, v255
	;; [unrolled: 1-line block ×4, first 2 shown]
	v_cvt_u32_f32_e32 v10, v10
	v_mul_u32_u24_e32 v12, 0xe3, v5
	v_mul_u32_u24_e32 v13, 0xe3, v6
	v_add_nc_u32_e32 v4, 0x253, v255
	v_mul_u32_u24_e32 v8, 0xe3, v2
	v_readfirstlane_b32 s23, v10
	v_lshrrev_b32_e32 v30, 16, v12
	v_lshrrev_b32_e32 v31, 16, v13
	v_mul_u32_u24_e32 v9, 0xe3, v3
	v_mul_u32_u24_e32 v11, 0xe3, v4
	s_mul_i32 s24, s24, s23
	v_mul_lo_u16 v13, 0x121, v30
	s_mul_hi_u32 s24, s23, s24
	v_mul_lo_u16 v14, 0x121, v31
	s_add_i32 s23, s23, s24
	v_lshrrev_b32_e32 v17, 16, v8
	s_mul_hi_u32 s23, s15, s23
	v_sub_nc_u16 v5, v5, v13
	s_mul_i32 s24, s23, s8
	s_add_i32 s25, s23, 1
	s_sub_i32 s24, s15, s24
	v_sub_nc_u16 v6, v6, v14
	s_sub_i32 s26, s24, s8
	s_cmp_ge_u32 s24, s8
	v_and_b32_e32 v32, 0xffff, v5
	s_cselect_b32 s23, s25, s23
	s_cselect_b32 s24, s26, s24
	s_add_i32 s25, s23, 1
	s_cmp_ge_u32 s24, s8
	v_mad_u64_u32 v[13:14], null, s20, v32, 0
	s_cselect_b32 s33, s25, s23
	s_lshl_b64 s[24:25], s[6:7], 3
	s_mul_i32 s8, s33, s8
	v_add_nc_u32_e32 v1, 0xee, v255
	s_sub_i32 s8, s15, s8
	v_lshrrev_b32_e32 v25, 16, v9
	s_mul_hi_u32 s15, s8, 0xf0f0f0f1
	v_lshrrev_b32_e32 v29, 16, v11
	s_lshr_b32 s15, s15, 4
	v_mul_u32_u24_e32 v7, 0xe3, v1
	s_mul_i32 s23, s15, 17
	v_mul_lo_u16 v9, 0x121, v17
	s_sub_i32 s8, s8, s23
	v_mul_lo_u16 v11, 0x121, v25
	s_add_i32 s15, s15, s8
	s_mul_i32 s6, s8, 7
	s_mul_hi_u32 s7, s15, 0xe2c4a689
	s_mul_i32 s8, s6, s14
	s_lshr_b32 s7, s7, 8
	s_mul_i32 s23, s17, s6
	s_mulk_i32 s7, 0x121
	v_lshrrev_b32_e32 v7, 16, v7
	s_sub_i32 s64, s15, s7
	s_mul_hi_u32 s7, s16, s6
	s_mul_i32 s15, s64, s22
	s_add_i32 s7, s7, s23
	s_add_i32 s8, s15, s8
	s_add_u32 s10, s10, s24
	s_addc_u32 s11, s11, s25
	v_mul_lo_u16 v8, 0x121, v7
	s_load_b64 s[22:23], s[10:11], 0x0
	v_mul_lo_u16 v12, 0x121, v29
	v_sub_nc_u16 v2, v2, v9
	v_sub_nc_u16 v3, v3, v11
	;; [unrolled: 1-line block ×3, first 2 shown]
	v_dual_mov_b32 v41, 0 :: v_dual_add_nc_u32 v0, 0x77, v255
	v_sub_nc_u16 v4, v4, v12
	v_and_b32_e32 v22, 0xffff, v2
	s_delay_alu instid0(VALU_DEP_4)
	v_and_b32_e32 v20, 0xffff, v1
	v_and_b32_e32 v23, 0xffff, v3
	;; [unrolled: 1-line block ×4, first 2 shown]
	v_mad_u64_u32 v[3:4], null, s20, v0, 0
	v_mad_u64_u32 v[5:6], null, s20, v20, 0
	v_mul_lo_u32 v40, s14, v7
	v_mad_u64_u32 v[7:8], null, s20, v22, 0
	s_waitcnt lgkmcnt(0)
	s_mul_i32 s10, s23, s33
	s_mul_hi_u32 s11, s22, s33
	v_mad_u64_u32 v[1:2], null, s20, v255, 0
	s_add_i32 s23, s11, s10
	s_add_u32 s10, s12, s24
	s_addc_u32 s11, s13, s25
	v_mad_u64_u32 v[9:10], null, s20, v23, 0
	s_load_b64 s[10:11], s[10:11], 0x0
	v_lshlrev_b64 v[15:16], 4, v[40:41]
	v_mul_lo_u32 v40, s14, v17
	v_mad_u64_u32 v[17:18], null, s21, v0, v[4:5]
	v_mad_u64_u32 v[18:19], null, s21, v20, v[6:7]
	;; [unrolled: 1-line block ×5, first 2 shown]
	s_delay_alu instid0(VALU_DEP_4) | instskip(SKIP_4) | instid1(VALU_DEP_4)
	v_dual_mov_b32 v6, v18 :: v_dual_add_nc_u32 v27, 0x3b8, v255
	v_mov_b32_e32 v4, v14
	s_mul_i32 s22, s22, s33
	v_mov_b32_e32 v2, v19
	s_lshl_b64 s[12:13], s[22:23], 4
	v_mov_b32_e32 v8, v20
	v_mad_u64_u32 v[21:22], null, s21, v23, v[10:11]
	s_waitcnt lgkmcnt(0)
	s_mul_i32 s11, s11, s33
	s_mul_hi_u32 s15, s10, s33
	v_mad_u64_u32 v[22:23], null, s21, v24, v[12:13]
	v_lshlrev_b64 v[23:24], 4, v[40:41]
	v_mul_lo_u32 v40, s14, v25
	v_mad_u64_u32 v[25:26], null, s21, v32, v[4:5]
	v_lshlrev_b64 v[5:6], 4, v[5:6]
	s_add_i32 s11, s15, s11
	v_mov_b32_e32 v10, v21
	s_add_u32 s12, s0, s12
	s_addc_u32 s13, s1, s13
	s_lshl_b64 s[0:1], s[8:9], 4
	v_lshlrev_b64 v[7:8], 4, v[7:8]
	s_add_u32 s0, s12, s0
	v_lshlrev_b64 v[9:10], 4, v[9:10]
	s_addc_u32 s1, s13, s1
	v_add_co_u32 v0, vcc_lo, s0, v5
	v_add_co_ci_u32_e32 v5, vcc_lo, s1, v6, vcc_lo
	v_add_co_u32 v6, vcc_lo, s0, v7
	v_add_co_ci_u32_e32 v7, vcc_lo, s1, v8, vcc_lo
	v_add_co_u32 v8, vcc_lo, s0, v9
	v_mov_b32_e32 v12, v22
	v_add_co_ci_u32_e32 v14, vcc_lo, s1, v10, vcc_lo
	v_mov_b32_e32 v4, v17
	v_lshlrev_b64 v[17:18], 4, v[40:41]
	v_mul_lo_u32 v40, s14, v29
	v_add_co_u32 v9, vcc_lo, v0, v15
	v_add_co_ci_u32_e32 v10, vcc_lo, v5, v16, vcc_lo
	v_lshlrev_b64 v[11:12], 4, v[11:12]
	v_add_co_u32 v15, vcc_lo, v6, v23
	v_mul_u32_u24_e32 v28, 0x717, v27
	v_add_co_ci_u32_e32 v16, vcc_lo, v7, v24, vcc_lo
	v_add_co_u32 v17, vcc_lo, v8, v17
	v_lshlrev_b64 v[19:20], 4, v[40:41]
	v_add_co_ci_u32_e32 v18, vcc_lo, v14, v18, vcc_lo
	v_add_co_u32 v0, vcc_lo, s0, v11
	v_lshrrev_b32_e32 v23, 19, v28
	v_add_co_ci_u32_e32 v7, vcc_lo, s1, v12, vcc_lo
	v_mov_b32_e32 v14, v25
	v_mad_u64_u32 v[5:6], null, s20, v33, 0
	s_delay_alu instid0(VALU_DEP_4)
	v_mul_lo_u16 v11, 0x121, v23
	v_add_co_u32 v19, vcc_lo, v0, v19
	v_add_co_ci_u32_e32 v20, vcc_lo, v7, v20, vcc_lo
	v_lshlrev_b64 v[7:8], 4, v[13:14]
	v_add_nc_u32_e32 v24, 0x42f, v255
	v_sub_nc_u16 v0, v27, v11
	v_mul_lo_u32 v40, s14, v30
	v_add_nc_u32_e32 v26, 0x4a6, v255
	v_add_nc_u32_e32 v28, 0x51d, v255
	v_mad_u64_u32 v[13:14], null, s21, v33, v[6:7]
	v_mul_u32_u24_e32 v6, 0x717, v24
	v_and_b32_e32 v0, 0xffff, v0
	v_add_co_u32 v14, vcc_lo, s0, v7
	v_add_co_ci_u32_e32 v22, vcc_lo, s1, v8, vcc_lo
	s_delay_alu instid0(VALU_DEP_4) | instskip(NEXT) | instid1(VALU_DEP_4)
	v_lshrrev_b32_e32 v25, 19, v6
	v_mad_u64_u32 v[7:8], null, s20, v0, 0
	v_lshlrev_b64 v[11:12], 4, v[40:41]
	v_mov_b32_e32 v6, v13
	s_delay_alu instid0(VALU_DEP_4)
	v_mul_lo_u16 v13, 0x121, v25
	v_mul_lo_u32 v40, s14, v31
	v_add_nc_u32_e32 v30, 0x594, v255
	v_add_nc_u32_e32 v38, 0x6f9, v255
	v_add_co_u32 v21, vcc_lo, v14, v11
	v_sub_nc_u16 v24, v24, v13
	v_mad_u64_u32 v[13:14], null, s21, v0, v[8:9]
	v_mul_u32_u24_e32 v8, 0x717, v26
	v_lshlrev_b64 v[5:6], 4, v[5:6]
	s_delay_alu instid0(VALU_DEP_4) | instskip(SKIP_1) | instid1(VALU_DEP_4)
	v_and_b32_e32 v0, 0xffff, v24
	v_add_co_ci_u32_e32 v22, vcc_lo, v22, v12, vcc_lo
	v_lshrrev_b32_e32 v27, 19, v8
	v_mov_b32_e32 v8, v13
	v_add_co_u32 v14, vcc_lo, s0, v5
	v_add_co_ci_u32_e32 v24, vcc_lo, s1, v6, vcc_lo
	v_mad_u64_u32 v[5:6], null, s20, v0, 0
	v_mul_lo_u16 v13, 0x121, v27
	v_lshlrev_b64 v[11:12], 4, v[40:41]
	v_lshlrev_b64 v[7:8], 4, v[7:8]
	v_mul_lo_u32 v40, s14, v23
	v_mul_u32_u24_e32 v31, 0x717, v30
	v_sub_nc_u16 v26, v26, v13
	v_lshlrev_b64 v[1:2], 4, v[1:2]
	v_add_co_u32 v23, vcc_lo, v14, v11
	v_mad_u64_u32 v[13:14], null, s21, v0, v[6:7]
	v_mul_u32_u24_e32 v6, 0x717, v28
	v_and_b32_e32 v0, 0xffff, v26
	v_add_co_ci_u32_e32 v24, vcc_lo, v24, v12, vcc_lo
	v_add_co_u32 v14, vcc_lo, s0, v7
	s_delay_alu instid0(VALU_DEP_4)
	v_lshrrev_b32_e32 v29, 19, v6
	v_add_co_ci_u32_e32 v26, vcc_lo, s1, v8, vcc_lo
	v_mad_u64_u32 v[7:8], null, s20, v0, 0
	v_lshlrev_b64 v[11:12], 4, v[40:41]
	v_mov_b32_e32 v6, v13
	v_mul_lo_u16 v13, 0x121, v29
	v_mul_lo_u32 v40, s14, v25
	v_lshrrev_b32_e32 v31, 19, v31
	v_lshlrev_b64 v[3:4], 4, v[3:4]
	v_add_co_u32 v25, vcc_lo, v14, v11
	v_sub_nc_u16 v28, v28, v13
	v_mad_u64_u32 v[13:14], null, s21, v0, v[8:9]
	v_lshlrev_b64 v[5:6], 4, v[5:6]
	v_add_co_ci_u32_e32 v26, vcc_lo, v26, v12, vcc_lo
	s_delay_alu instid0(VALU_DEP_4)
	v_and_b32_e32 v0, 0xffff, v28
	v_lshlrev_b64 v[11:12], 4, v[40:41]
	v_mul_lo_u16 v32, 0x121, v31
	v_mov_b32_e32 v8, v13
	v_add_co_u32 v14, vcc_lo, s0, v5
	v_add_co_ci_u32_e32 v28, vcc_lo, s1, v6, vcc_lo
	v_mad_u64_u32 v[5:6], null, s20, v0, 0
	s_delay_alu instid0(VALU_DEP_4) | instskip(SKIP_3) | instid1(VALU_DEP_4)
	v_lshlrev_b64 v[7:8], 4, v[7:8]
	v_mul_lo_u32 v40, s14, v27
	v_add_co_u32 v27, vcc_lo, v14, v11
	v_add_co_ci_u32_e32 v28, vcc_lo, v28, v12, vcc_lo
	v_mad_u64_u32 v[13:14], null, s21, v0, v[6:7]
	v_sub_nc_u16 v0, v30, v32
	v_add_nc_u32_e32 v32, 0x60b, v255
	v_add_co_u32 v14, vcc_lo, s0, v7
	v_add_co_ci_u32_e32 v30, vcc_lo, s1, v8, vcc_lo
	s_delay_alu instid0(VALU_DEP_3)
	v_mul_u32_u24_e32 v33, 0x717, v32
	v_and_b32_e32 v0, 0xffff, v0
	v_lshlrev_b64 v[11:12], 4, v[40:41]
	v_mov_b32_e32 v6, v13
	v_mul_lo_u32 v40, s14, v29
	v_lshrrev_b32_e32 v35, 19, v33
	v_add_nc_u32_e32 v33, 0x682, v255
	v_mad_u64_u32 v[7:8], null, s20, v0, 0
	v_add_co_u32 v29, vcc_lo, v14, v11
	s_delay_alu instid0(VALU_DEP_3) | instskip(SKIP_3) | instid1(VALU_DEP_4)
	v_mul_u32_u24_e32 v36, 0x717, v33
	v_mul_lo_u16 v34, 0x121, v35
	v_lshlrev_b64 v[5:6], 4, v[5:6]
	v_add_co_ci_u32_e32 v30, vcc_lo, v30, v12, vcc_lo
	v_lshrrev_b32_e32 v36, 19, v36
	v_mad_u64_u32 v[13:14], null, s21, v0, v[8:9]
	v_sub_nc_u16 v0, v32, v34
	v_lshlrev_b64 v[11:12], 4, v[40:41]
	s_delay_alu instid0(VALU_DEP_4) | instskip(SKIP_1) | instid1(VALU_DEP_4)
	v_mul_lo_u16 v34, 0x121, v36
	v_add_co_u32 v14, vcc_lo, s0, v5
	v_and_b32_e32 v0, 0xffff, v0
	v_mov_b32_e32 v8, v13
	s_delay_alu instid0(VALU_DEP_4) | instskip(SKIP_1) | instid1(VALU_DEP_4)
	v_sub_nc_u16 v13, v33, v34
	v_add_co_ci_u32_e32 v32, vcc_lo, s1, v6, vcc_lo
	v_mad_u64_u32 v[5:6], null, s20, v0, 0
	s_delay_alu instid0(VALU_DEP_3) | instskip(SKIP_3) | instid1(VALU_DEP_4)
	v_and_b32_e32 v37, 0xffff, v13
	v_lshlrev_b64 v[7:8], 4, v[7:8]
	v_mul_lo_u32 v40, s14, v31
	v_add_co_u32 v31, vcc_lo, v14, v11
	v_mad_u64_u32 v[13:14], null, s20, v37, 0
	v_add_co_ci_u32_e32 v32, vcc_lo, v32, v12, vcc_lo
	v_mad_u64_u32 v[33:34], null, s21, v0, v[6:7]
	v_add_co_u32 v39, vcc_lo, s0, v7
	v_lshlrev_b64 v[11:12], 4, v[40:41]
	v_add_co_ci_u32_e32 v8, vcc_lo, s1, v8, vcc_lo
	v_mov_b32_e32 v7, v14
	v_mul_u32_u24_e32 v0, 0x717, v38
	v_mov_b32_e32 v6, v33
	v_mul_lo_u32 v40, s14, v35
	v_lshl_add_u32 v46, v255, 4, 0
	v_mad_u64_u32 v[33:34], null, s21, v37, v[7:8]
	v_lshrrev_b32_e32 v0, 19, v0
	v_add_co_u32 v34, vcc_lo, v39, v11
	v_add_nc_u32_e32 v39, 0x770, v255
	v_add_co_ci_u32_e32 v35, vcc_lo, v8, v12, vcc_lo
	s_delay_alu instid0(VALU_DEP_4) | instskip(SKIP_1) | instid1(VALU_DEP_4)
	v_mul_lo_u16 v14, 0x121, v0
	v_lshlrev_b64 v[5:6], 4, v[5:6]
	v_mul_u32_u24_e32 v12, 0x717, v39
	v_lshlrev_b64 v[7:8], 4, v[40:41]
	v_mul_lo_u32 v40, s14, v36
	v_sub_nc_u16 v11, v38, v14
	v_mov_b32_e32 v14, v33
	v_lshrrev_b32_e32 v44, 19, v12
	v_add_co_u32 v33, vcc_lo, s0, v5
	v_add_co_ci_u32_e32 v37, vcc_lo, s1, v6, vcc_lo
	s_delay_alu instid0(VALU_DEP_4) | instskip(NEXT) | instid1(VALU_DEP_4)
	v_lshlrev_b64 v[5:6], 4, v[13:14]
	v_mul_lo_u16 v13, 0x121, v44
	v_and_b32_e32 v42, 0xffff, v11
	v_add_co_u32 v36, vcc_lo, v33, v7
	v_add_co_ci_u32_e32 v37, vcc_lo, v37, v8, vcc_lo
	s_delay_alu instid0(VALU_DEP_4) | instskip(NEXT) | instid1(VALU_DEP_4)
	v_sub_nc_u16 v13, v39, v13
	v_mad_u64_u32 v[11:12], null, s20, v42, 0
	v_lshlrev_b64 v[7:8], 4, v[40:41]
	v_add_co_u32 v14, vcc_lo, s0, v5
	s_delay_alu instid0(VALU_DEP_4) | instskip(SKIP_2) | instid1(VALU_DEP_4)
	v_and_b32_e32 v33, 0xffff, v13
	v_add_co_ci_u32_e32 v6, vcc_lo, s1, v6, vcc_lo
	v_mov_b32_e32 v5, v12
	v_add_co_u32 v38, vcc_lo, v14, v7
	s_delay_alu instid0(VALU_DEP_4) | instskip(NEXT) | instid1(VALU_DEP_4)
	v_mad_u64_u32 v[13:14], null, s20, v33, 0
	v_add_co_ci_u32_e32 v39, vcc_lo, v6, v8, vcc_lo
	v_add_co_u32 v1, vcc_lo, s0, v1
	v_mad_u64_u32 v[6:7], null, s21, v42, v[5:6]
	v_add_co_ci_u32_e32 v2, vcc_lo, s1, v2, vcc_lo
	v_add_co_u32 v7, vcc_lo, s0, v3
	v_add_co_ci_u32_e32 v8, vcc_lo, s1, v4, vcc_lo
	v_mov_b32_e32 v5, v14
	global_load_b128 v[1:4], v[1:2], off
	v_mov_b32_e32 v12, v6
	v_mul_lo_u32 v40, s14, v0
	s_mov_b32 s26, 0x75d4884
	v_mad_u64_u32 v[42:43], null, s21, v33, v[5:6]
	global_load_b128 v[5:8], v[7:8], off
	v_lshlrev_b64 v[11:12], 4, v[11:12]
	s_mov_b32 s12, 0x910ea3b9
	s_mov_b32 s27, 0x3fe7a5f6
	;; [unrolled: 1-line block ×4, first 2 shown]
	v_mov_b32_e32 v14, v42
	v_lshlrev_b64 v[42:43], 4, v[40:41]
	v_mul_lo_u32 v40, s14, v44
	v_add_co_u32 v0, vcc_lo, s0, v11
	v_add_co_ci_u32_e32 v33, vcc_lo, s1, v12, vcc_lo
	v_lshlrev_b64 v[11:12], 4, v[13:14]
	s_delay_alu instid0(VALU_DEP_3) | instskip(NEXT) | instid1(VALU_DEP_3)
	v_add_co_u32 v42, vcc_lo, v0, v42
	v_add_co_ci_u32_e32 v43, vcc_lo, v33, v43, vcc_lo
	v_lshlrev_b64 v[13:14], 4, v[40:41]
	s_delay_alu instid0(VALU_DEP_4) | instskip(SKIP_2) | instid1(VALU_DEP_2)
	v_add_co_u32 v0, vcc_lo, s0, v11
	v_add_co_ci_u32_e32 v11, vcc_lo, s1, v12, vcc_lo
	s_mov_b32 s22, 0x3259b75e
	v_add_co_u32 v44, vcc_lo, v0, v13
	s_delay_alu instid0(VALU_DEP_2)
	v_add_co_ci_u32_e32 v45, vcc_lo, v11, v14, vcc_lo
	global_load_b128 v[9:12], v[9:10], off
	v_mul_u32_u24_e32 v0, 0xf10, v255
	s_mov_b32 s20, 0xc61f0d01
	s_mov_b32 s14, 0x6ed5f1bb
	;; [unrolled: 1-line block ×4, first 2 shown]
	v_lshrrev_b32_e32 v0, 16, v0
	s_mov_b32 s23, 0x3fb79ee6
	s_mov_b32 s21, 0xbfd183b1
	;; [unrolled: 1-line block ×4, first 2 shown]
	s_mul_i32 s10, s10, s33
	s_mul_i32 s8, s64, s19
	s_waitcnt vmcnt(2)
	ds_store_b128 v46, v[1:4]
	s_clause 0x1
	global_load_b128 v[1:4], v[15:16], off
	global_load_b128 v[13:16], v[17:18], off
	s_waitcnt vmcnt(3)
	ds_store_b128 v46, v[5:8] offset:1904
	s_clause 0x1
	global_load_b128 v[5:8], v[19:20], off
	global_load_b128 v[17:20], v[21:22], off
	s_waitcnt vmcnt(4)
	ds_store_b128 v46, v[9:12] offset:3808
	global_load_b128 v[9:12], v[23:24], off
	s_waitcnt vmcnt(4)
	ds_store_b128 v46, v[1:4] offset:5712
	s_clause 0x1
	global_load_b128 v[1:4], v[25:26], off
	global_load_b128 v[21:24], v[27:28], off
	s_waitcnt vmcnt(5)
	ds_store_b128 v46, v[13:16] offset:7616
	s_clause 0x1
	global_load_b128 v[13:16], v[29:30], off
	;; [unrolled: 5-line block ×4, first 2 shown]
	global_load_b128 v[33:36], v[42:43], off
	global_load_b128 v[37:40], v[44:45], off
	s_waitcnt vmcnt(9)
	ds_store_b128 v46, v[9:12] offset:13328
	v_add_nc_u32_e32 v9, s6, v0
	v_mul_lo_u16 v0, v0, 17
	s_mul_i32 s6, s16, s6
	s_waitcnt vmcnt(8)
	ds_store_b128 v46, v[1:4] offset:15232
	s_waitcnt vmcnt(7)
	ds_store_b128 v46, v[21:24] offset:17136
	;; [unrolled: 2-line block ×9, first 2 shown]
	v_and_b32_e32 v10, 0xff, v9
	v_sub_nc_u16 v0, v255, v0
	s_waitcnt lgkmcnt(0)
	s_barrier
	buffer_gl0_inv
	v_mul_lo_u16 v10, v10, 37
	v_and_b32_e32 v0, 0xffff, v0
	s_delay_alu instid0(VALU_DEP_2) | instskip(NEXT) | instid1(VALU_DEP_1)
	v_lshrrev_b16 v10, 8, v10
	v_sub_nc_u16 v11, v9, v10
	s_delay_alu instid0(VALU_DEP_1) | instskip(NEXT) | instid1(VALU_DEP_1)
	v_lshrrev_b16 v11, 1, v11
	v_and_b32_e32 v11, 0x7f, v11
	s_delay_alu instid0(VALU_DEP_1) | instskip(NEXT) | instid1(VALU_DEP_1)
	v_add_nc_u16 v10, v11, v10
	v_lshrrev_b16 v10, 2, v10
	s_delay_alu instid0(VALU_DEP_1) | instskip(NEXT) | instid1(VALU_DEP_1)
	v_mul_lo_u16 v10, v10, 7
	v_sub_nc_u16 v9, v9, v10
	v_lshlrev_b32_e32 v10, 4, v0
	s_delay_alu instid0(VALU_DEP_2) | instskip(NEXT) | instid1(VALU_DEP_1)
	v_and_b32_e32 v9, 0xff, v9
	v_mul_u32_u24_e32 v9, 0x121, v9
	s_delay_alu instid0(VALU_DEP_1) | instskip(NEXT) | instid1(VALU_DEP_1)
	v_lshlrev_b32_e32 v9, 4, v9
	v_add_nc_u32_e32 v192, 0, v9
	v_add3_u32 v238, 0, v10, v9
	s_delay_alu instid0(VALU_DEP_2)
	v_add_nc_u32_e32 v237, v192, v10
	ds_load_b128 v[1:4], v237
	ds_load_b128 v[5:8], v238 offset:272
	ds_load_b128 v[9:12], v238 offset:544
	ds_load_b128 v[13:16], v238 offset:816
	s_waitcnt lgkmcnt(2)
	v_add_f64 v[19:20], v[3:4], v[7:8]
	v_add_f64 v[17:18], v[1:2], v[5:6]
	s_waitcnt lgkmcnt(1)
	s_delay_alu instid0(VALU_DEP_2) | instskip(NEXT) | instid1(VALU_DEP_2)
	v_add_f64 v[19:20], v[19:20], v[11:12]
	v_add_f64 v[17:18], v[17:18], v[9:10]
	s_waitcnt lgkmcnt(0)
	s_delay_alu instid0(VALU_DEP_2) | instskip(NEXT) | instid1(VALU_DEP_2)
	v_add_f64 v[27:28], v[19:20], v[15:16]
	v_add_f64 v[25:26], v[17:18], v[13:14]
	ds_load_b128 v[17:20], v238 offset:1088
	ds_load_b128 v[21:24], v238 offset:1360
	s_waitcnt lgkmcnt(1)
	v_add_f64 v[27:28], v[27:28], v[19:20]
	v_add_f64 v[25:26], v[25:26], v[17:18]
	s_waitcnt lgkmcnt(0)
	s_delay_alu instid0(VALU_DEP_2) | instskip(NEXT) | instid1(VALU_DEP_2)
	v_add_f64 v[35:36], v[27:28], v[23:24]
	v_add_f64 v[33:34], v[25:26], v[21:22]
	ds_load_b128 v[25:28], v238 offset:1632
	ds_load_b128 v[29:32], v238 offset:1904
	s_waitcnt lgkmcnt(1)
	;; [unrolled: 9-line block ×3, first 2 shown]
	v_add_f64 v[98:99], v[33:34], -v[37:38]
	v_add_f64 v[100:101], v[35:36], -v[39:40]
	v_add_f64 v[48:49], v[44:45], v[35:36]
	v_add_f64 v[46:47], v[42:43], v[33:34]
	;; [unrolled: 1-line block ×4, first 2 shown]
	v_mul_f64 v[142:143], v[98:99], s[48:49]
	v_mul_f64 v[138:139], v[100:101], s[48:49]
	;; [unrolled: 1-line block ×6, first 2 shown]
	v_add_f64 v[52:53], v[48:49], v[39:40]
	v_add_f64 v[50:51], v[46:47], v[37:38]
	ds_load_b128 v[37:40], v238 offset:2720
	ds_load_b128 v[46:49], v238 offset:2992
	s_waitcnt lgkmcnt(1)
	v_add_f64 v[35:36], v[31:32], v[39:40]
	v_add_f64 v[104:105], v[31:32], -v[39:40]
	v_add_f64 v[33:34], v[29:30], v[37:38]
	v_add_f64 v[102:103], v[29:30], -v[37:38]
	s_waitcnt lgkmcnt(0)
	v_add_f64 v[31:32], v[27:28], v[48:49]
	v_add_f64 v[116:117], v[27:28], -v[48:49]
	v_add_f64 v[29:30], v[25:26], v[46:47]
	v_add_f64 v[106:107], v[25:26], -v[46:47]
	v_add_f64 v[39:40], v[52:53], v[39:40]
	v_add_f64 v[37:38], v[50:51], v[37:38]
	ds_load_b128 v[25:28], v238 offset:3264
	ds_load_b128 v[50:53], v238 offset:3536
	s_waitcnt lgkmcnt(1)
	v_add_f64 v[136:137], v[23:24], -v[27:28]
	v_add_f64 v[134:135], v[21:22], -v[25:26]
	s_waitcnt lgkmcnt(0)
	v_add_f64 v[140:141], v[17:18], -v[50:51]
	v_add_f64 v[144:145], v[19:20], -v[52:53]
	v_mul_f64 v[130:131], v[104:105], s[46:47]
	v_mul_f64 v[126:127], v[116:117], s[56:57]
	;; [unrolled: 1-line block ×12, first 2 shown]
	v_add_f64 v[48:49], v[39:40], v[48:49]
	v_add_f64 v[46:47], v[37:38], v[46:47]
	;; [unrolled: 1-line block ×4, first 2 shown]
	v_mul_f64 v[122:123], v[136:137], s[60:61]
	v_mul_f64 v[124:125], v[134:135], s[60:61]
	;; [unrolled: 1-line block ×10, first 2 shown]
	v_add_f64 v[23:24], v[48:49], v[27:28]
	v_add_f64 v[21:22], v[46:47], v[25:26]
	;; [unrolled: 1-line block ×4, first 2 shown]
	s_delay_alu instid0(VALU_DEP_4) | instskip(NEXT) | instid1(VALU_DEP_4)
	v_add_f64 v[27:28], v[23:24], v[52:53]
	v_add_f64 v[25:26], v[21:22], v[50:51]
	ds_load_b128 v[17:20], v238 offset:3808
	ds_load_b128 v[21:24], v238 offset:4080
	s_waitcnt lgkmcnt(1)
	v_add_f64 v[52:53], v[15:16], v[19:20]
	v_add_f64 v[148:149], v[15:16], -v[19:20]
	s_waitcnt lgkmcnt(0)
	v_add_f64 v[54:55], v[9:10], v[21:22]
	v_add_f64 v[56:57], v[11:12], v[23:24]
	v_add_f64 v[150:151], v[9:10], -v[21:22]
	v_add_f64 v[156:157], v[11:12], -v[23:24]
	ds_load_b128 v[9:12], v238 offset:4352
	v_add_f64 v[50:51], v[13:14], v[17:18]
	v_add_f64 v[146:147], v[13:14], -v[17:18]
	v_add_f64 v[15:16], v[27:28], v[19:20]
	v_add_f64 v[13:14], v[25:26], v[17:18]
	s_waitcnt lgkmcnt(0)
	v_add_f64 v[17:18], v[7:8], -v[11:12]
	v_add_f64 v[19:20], v[5:6], v[9:10]
	v_mul_f64 v[227:228], v[148:149], s[56:57]
	v_mul_f64 v[225:226], v[150:151], s[40:41]
	v_mul_f64 v[158:159], v[156:157], s[34:35]
	v_mul_f64 v[223:224], v[156:157], s[40:41]
	v_mul_f64 v[164:165], v[146:147], s[62:63]
	v_mul_f64 v[229:230], v[146:147], s[56:57]
	v_add_f64 v[15:16], v[15:16], v[23:24]
	v_add_f64 v[13:14], v[13:14], v[21:22]
	;; [unrolled: 1-line block ×3, first 2 shown]
	v_add_f64 v[23:24], v[5:6], -v[9:10]
	v_mul_f64 v[58:59], v[17:18], s[36:37]
	v_mul_f64 v[25:26], v[17:18], s[30:31]
	;; [unrolled: 1-line block ×3, first 2 shown]
	v_add_f64 v[7:8], v[15:16], v[11:12]
	v_mul_f64 v[11:12], v[17:18], s[44:45]
	v_add_f64 v[5:6], v[13:14], v[9:10]
	v_mul_f64 v[9:10], v[17:18], s[38:39]
	v_mul_f64 v[13:14], v[17:18], s[52:53]
	v_mul_f64 v[15:16], v[17:18], s[42:43]
	v_mul_f64 v[17:18], v[17:18], s[40:41]
	v_mul_f64 v[66:67], v[23:24], s[52:53]
	v_mul_f64 v[80:81], v[23:24], s[42:43]
	v_fma_f64 v[74:75], v[19:20], s[12:13], -v[58:59]
	v_fma_f64 v[76:77], v[19:20], s[12:13], v[58:59]
	v_mul_f64 v[58:59], v[23:24], s[44:45]
	v_fma_f64 v[70:71], v[19:20], s[20:21], -v[25:26]
	v_fma_f64 v[25:26], v[19:20], s[20:21], v[25:26]
	v_fma_f64 v[72:73], v[19:20], s[14:15], -v[27:28]
	v_fma_f64 v[27:28], v[19:20], s[14:15], v[27:28]
	v_mul_f64 v[82:83], v[23:24], s[30:31]
	v_mul_f64 v[84:85], v[23:24], s[34:35]
	v_mul_f64 v[86:87], v[23:24], s[36:37]
	v_fma_f64 v[62:63], v[19:20], s[26:27], -v[11:12]
	v_fma_f64 v[11:12], v[19:20], s[26:27], v[11:12]
	v_fma_f64 v[60:61], v[19:20], s[28:29], -v[9:10]
	v_fma_f64 v[9:10], v[19:20], s[28:29], v[9:10]
	;; [unrolled: 2-line block ×5, first 2 shown]
	v_fma_f64 v[92:93], v[21:22], s[26:27], -v[58:59]
	v_mul_f64 v[19:20], v[23:24], s[38:39]
	v_fma_f64 v[108:109], v[21:22], s[24:25], -v[66:67]
	v_mul_f64 v[23:24], v[23:24], s[40:41]
	v_fma_f64 v[110:111], v[21:22], s[22:23], v[80:81]
	v_fma_f64 v[80:81], v[21:22], s[22:23], -v[80:81]
	v_fma_f64 v[90:91], v[21:22], s[26:27], v[58:59]
	v_fma_f64 v[94:95], v[21:22], s[24:25], v[66:67]
	;; [unrolled: 1-line block ×3, first 2 shown]
	v_fma_f64 v[82:83], v[21:22], s[20:21], -v[82:83]
	v_fma_f64 v[114:115], v[21:22], s[14:15], v[84:85]
	v_fma_f64 v[84:85], v[21:22], s[14:15], -v[84:85]
	v_fma_f64 v[118:119], v[21:22], s[12:13], v[86:87]
	v_fma_f64 v[86:87], v[21:22], s[12:13], -v[86:87]
	v_add_f64 v[197:198], v[1:2], v[70:71]
	v_add_f64 v[25:26], v[1:2], v[25:26]
	;; [unrolled: 1-line block ×6, first 2 shown]
	v_mul_f64 v[70:71], v[148:149], s[52:53]
	v_mul_f64 v[72:73], v[146:147], s[52:53]
	;; [unrolled: 1-line block ×5, first 2 shown]
	v_add_f64 v[11:12], v[1:2], v[11:12]
	v_add_f64 v[9:10], v[1:2], v[9:10]
	;; [unrolled: 1-line block ×3, first 2 shown]
	v_mul_f64 v[64:65], v[156:157], s[44:45]
	v_add_f64 v[193:194], v[1:2], v[68:69]
	v_mul_f64 v[68:69], v[150:151], s[44:45]
	v_add_f64 v[219:220], v[1:2], v[78:79]
	v_add_f64 v[188:189], v[1:2], v[17:18]
	v_mul_f64 v[78:79], v[136:137], s[30:31]
	v_fma_f64 v[88:89], v[21:22], s[28:29], v[19:20]
	v_fma_f64 v[19:20], v[21:22], s[28:29], -v[19:20]
	v_fma_f64 v[120:121], v[21:22], s[0:1], v[23:24]
	v_fma_f64 v[21:22], v[21:22], s[0:1], -v[23:24]
	v_add_f64 v[23:24], v[1:2], v[60:61]
	v_add_f64 v[195:196], v[3:4], v[110:111]
	;; [unrolled: 1-line block ×9, first 2 shown]
	v_mul_f64 v[82:83], v[116:117], s[34:35]
	v_mul_f64 v[84:85], v[106:107], s[34:35]
	;; [unrolled: 1-line block ×7, first 2 shown]
	scratch_store_b64 off, v[11:12], off offset:24 ; 8-byte Folded Spill
	v_add_f64 v[11:12], v[3:4], v[92:93]
	scratch_store_b64 off, v[9:10], off     ; 8-byte Folded Spill
	v_mul_f64 v[92:93], v[98:99], s[40:41]
	v_add_f64 v[88:89], v[3:4], v[88:89]
	v_add_f64 v[9:10], v[3:4], v[19:20]
	;; [unrolled: 1-line block ×5, first 2 shown]
	v_mul_f64 v[90:91], v[100:101], s[40:41]
	v_mul_f64 v[120:121], v[140:141], s[40:41]
	v_fma_f64 v[21:22], v[50:51], s[20:21], -v[227:228]
	scratch_store_b64 off, v[11:12], off offset:16 ; 8-byte Folded Spill
	v_add_f64 v[11:12], v[1:2], v[13:14]
	v_fma_f64 v[13:14], v[50:51], s[14:15], -v[112:113]
	scratch_store_b64 off, v[11:12], off offset:40 ; 8-byte Folded Spill
	v_add_f64 v[11:12], v[3:4], v[108:109]
	scratch_store_b64 off, v[9:10], off offset:8 ; 8-byte Folded Spill
	v_add_f64 v[9:10], v[1:2], v[62:63]
	v_mul_f64 v[108:109], v[156:157], s[42:43]
	scratch_store_b64 off, v[11:12], off offset:32 ; 8-byte Folded Spill
	v_add_f64 v[11:12], v[1:2], v[15:16]
	v_fma_f64 v[1:2], v[54:55], s[26:27], -v[64:65]
	scratch_store_b64 off, v[11:12], off offset:56 ; 8-byte Folded Spill
	v_add_f64 v[11:12], v[3:4], v[80:81]
	v_add_f64 v[1:2], v[1:2], v[23:24]
	v_fma_f64 v[3:4], v[56:57], s[26:27], v[68:69]
	v_mul_f64 v[80:81], v[134:135], s[30:31]
	scratch_store_b64 off, v[11:12], off offset:48 ; 8-byte Folded Spill
	v_fma_f64 v[11:12], v[50:51], s[24:25], -v[70:71]
	v_add_f64 v[3:4], v[3:4], v[88:89]
	v_mul_f64 v[88:89], v[102:103], s[36:37]
	s_delay_alu instid0(VALU_DEP_3) | instskip(SKIP_1) | instid1(VALU_DEP_1)
	v_add_f64 v[1:2], v[11:12], v[1:2]
	v_fma_f64 v[11:12], v[52:53], s[24:25], v[72:73]
	v_add_f64 v[3:4], v[11:12], v[3:4]
	v_fma_f64 v[11:12], v[46:47], s[22:23], -v[74:75]
	s_delay_alu instid0(VALU_DEP_1) | instskip(SKIP_1) | instid1(VALU_DEP_1)
	v_add_f64 v[1:2], v[11:12], v[1:2]
	v_fma_f64 v[11:12], v[48:49], s[22:23], v[76:77]
	v_add_f64 v[3:4], v[11:12], v[3:4]
	v_fma_f64 v[11:12], v[37:38], s[20:21], -v[78:79]
	s_delay_alu instid0(VALU_DEP_1) | instskip(SKIP_1) | instid1(VALU_DEP_1)
	;; [unrolled: 5-line block ×5, first 2 shown]
	v_add_f64 v[1:2], v[11:12], v[1:2]
	v_fma_f64 v[11:12], v[44:45], s[0:1], v[92:93]
	v_add_f64 v[3:4], v[11:12], v[3:4]
	v_fma_f64 v[11:12], v[54:55], s[22:23], -v[108:109]
	s_delay_alu instid0(VALU_DEP_1) | instskip(SKIP_1) | instid1(VALU_DEP_2)
	v_add_f64 v[9:10], v[11:12], v[9:10]
	v_fma_f64 v[11:12], v[56:57], s[22:23], v[110:111]
	v_add_f64 v[9:10], v[13:14], v[9:10]
	s_delay_alu instid0(VALU_DEP_2) | instskip(SKIP_2) | instid1(VALU_DEP_2)
	v_add_f64 v[11:12], v[11:12], v[19:20]
	v_fma_f64 v[13:14], v[52:53], s[14:15], v[114:115]
	v_fma_f64 v[19:20], v[56:57], s[0:1], v[225:226]
	v_add_f64 v[11:12], v[13:14], v[11:12]
	v_fma_f64 v[13:14], v[46:47], s[0:1], -v[118:119]
	s_delay_alu instid0(VALU_DEP_3) | instskip(SKIP_1) | instid1(VALU_DEP_3)
	v_add_f64 v[19:20], v[19:20], v[195:196]
	v_mul_f64 v[195:196], v[148:149], s[50:51]
	v_add_f64 v[9:10], v[13:14], v[9:10]
	v_fma_f64 v[13:14], v[48:49], s[0:1], v[120:121]
	s_delay_alu instid0(VALU_DEP_1) | instskip(SKIP_1) | instid1(VALU_DEP_1)
	v_add_f64 v[11:12], v[13:14], v[11:12]
	v_fma_f64 v[13:14], v[37:38], s[12:13], -v[122:123]
	v_add_f64 v[9:10], v[13:14], v[9:10]
	v_fma_f64 v[13:14], v[39:40], s[12:13], v[124:125]
	s_delay_alu instid0(VALU_DEP_1) | instskip(SKIP_1) | instid1(VALU_DEP_1)
	v_add_f64 v[11:12], v[13:14], v[11:12]
	v_fma_f64 v[13:14], v[29:30], s[20:21], -v[126:127]
	;; [unrolled: 5-line block ×5, first 2 shown]
	v_add_f64 v[13:14], v[13:14], v[160:161]
	v_mul_f64 v[160:161], v[150:151], s[34:35]
	s_delay_alu instid0(VALU_DEP_1) | instskip(NEXT) | instid1(VALU_DEP_1)
	v_fma_f64 v[15:16], v[56:57], s[14:15], v[160:161]
	v_add_f64 v[15:16], v[15:16], v[162:163]
	v_mul_f64 v[162:163], v[148:149], s[62:63]
	s_delay_alu instid0(VALU_DEP_1) | instskip(NEXT) | instid1(VALU_DEP_1)
	v_fma_f64 v[17:18], v[50:51], s[0:1], -v[162:163]
	v_add_f64 v[13:14], v[17:18], v[13:14]
	v_fma_f64 v[17:18], v[52:53], s[0:1], v[164:165]
	s_delay_alu instid0(VALU_DEP_1) | instskip(SKIP_1) | instid1(VALU_DEP_1)
	v_add_f64 v[15:16], v[17:18], v[15:16]
	v_fma_f64 v[17:18], v[46:47], s[20:21], -v[166:167]
	v_add_f64 v[13:14], v[17:18], v[13:14]
	v_fma_f64 v[17:18], v[48:49], s[20:21], v[168:169]
	s_delay_alu instid0(VALU_DEP_1) | instskip(SKIP_1) | instid1(VALU_DEP_1)
	v_add_f64 v[15:16], v[17:18], v[15:16]
	;; [unrolled: 5-line block ×6, first 2 shown]
	v_fma_f64 v[17:18], v[54:55], s[0:1], -v[223:224]
	v_add_f64 v[17:18], v[17:18], v[193:194]
	v_mul_f64 v[193:194], v[150:151], s[60:61]
	s_delay_alu instid0(VALU_DEP_2) | instskip(SKIP_1) | instid1(VALU_DEP_3)
	v_add_f64 v[17:18], v[21:22], v[17:18]
	v_fma_f64 v[21:22], v[52:53], s[20:21], v[229:230]
	v_fma_f64 v[23:24], v[56:57], s[12:13], v[193:194]
	s_delay_alu instid0(VALU_DEP_2) | instskip(SKIP_1) | instid1(VALU_DEP_3)
	v_add_f64 v[19:20], v[21:22], v[19:20]
	v_fma_f64 v[21:22], v[46:47], s[28:29], -v[231:232]
	v_add_f64 v[23:24], v[23:24], v[199:200]
	s_delay_alu instid0(VALU_DEP_2) | instskip(SKIP_1) | instid1(VALU_DEP_1)
	v_add_f64 v[17:18], v[21:22], v[17:18]
	v_fma_f64 v[21:22], v[48:49], s[28:29], v[233:234]
	v_add_f64 v[19:20], v[21:22], v[19:20]
	v_fma_f64 v[21:22], v[37:38], s[24:25], -v[235:236]
	s_delay_alu instid0(VALU_DEP_1) | instskip(SKIP_1) | instid1(VALU_DEP_1)
	v_add_f64 v[17:18], v[21:22], v[17:18]
	v_fma_f64 v[21:22], v[39:40], s[24:25], v[239:240]
	v_add_f64 v[19:20], v[21:22], v[19:20]
	v_fma_f64 v[21:22], v[29:30], s[12:13], -v[241:242]
	s_delay_alu instid0(VALU_DEP_1) | instskip(SKIP_1) | instid1(VALU_DEP_1)
	;; [unrolled: 5-line block ×4, first 2 shown]
	v_add_f64 v[17:18], v[21:22], v[17:18]
	v_fma_f64 v[21:22], v[44:45], s[26:27], v[251:252]
	v_add_f64 v[19:20], v[21:22], v[19:20]
	v_fma_f64 v[21:22], v[54:55], s[12:13], -v[27:28]
	v_fma_f64 v[27:28], v[54:55], s[12:13], v[27:28]
	s_delay_alu instid0(VALU_DEP_2) | instskip(SKIP_1) | instid1(VALU_DEP_3)
	v_add_f64 v[21:22], v[21:22], v[197:198]
	v_fma_f64 v[197:198], v[50:51], s[26:27], -v[195:196]
	v_add_f64 v[25:26], v[27:28], v[25:26]
	v_fma_f64 v[27:28], v[56:57], s[12:13], -v[193:194]
	s_delay_alu instid0(VALU_DEP_3) | instskip(SKIP_1) | instid1(VALU_DEP_3)
	v_add_f64 v[21:22], v[197:198], v[21:22]
	v_mul_f64 v[197:198], v[146:147], s[50:51]
	v_add_f64 v[27:28], v[27:28], v[201:202]
	v_mul_f64 v[201:202], v[106:107], s[44:45]
	s_delay_alu instid0(VALU_DEP_3) | instskip(NEXT) | instid1(VALU_DEP_1)
	v_fma_f64 v[199:200], v[52:53], s[26:27], v[197:198]
	v_add_f64 v[23:24], v[199:200], v[23:24]
	v_mul_f64 v[199:200], v[144:145], s[52:53]
	s_delay_alu instid0(VALU_DEP_1) | instskip(NEXT) | instid1(VALU_DEP_1)
	v_fma_f64 v[253:254], v[46:47], s[24:25], -v[199:200]
	v_add_f64 v[21:22], v[253:254], v[21:22]
	v_mul_f64 v[253:254], v[140:141], s[52:53]
	s_delay_alu instid0(VALU_DEP_1) | instskip(NEXT) | instid1(VALU_DEP_1)
	v_fma_f64 v[190:191], v[48:49], s[24:25], v[253:254]
	v_add_f64 v[23:24], v[190:191], v[23:24]
	v_mul_f64 v[190:191], v[136:137], s[40:41]
	s_delay_alu instid0(VALU_DEP_1) | instskip(NEXT) | instid1(VALU_DEP_1)
	v_fma_f64 v[58:59], v[37:38], s[0:1], -v[190:191]
	v_add_f64 v[21:22], v[58:59], v[21:22]
	v_mul_f64 v[58:59], v[134:135], s[40:41]
	s_delay_alu instid0(VALU_DEP_1) | instskip(SKIP_1) | instid1(VALU_DEP_2)
	v_fma_f64 v[60:61], v[39:40], s[0:1], v[58:59]
	v_fma_f64 v[58:59], v[39:40], s[0:1], -v[58:59]
	v_add_f64 v[23:24], v[60:61], v[23:24]
	v_mul_f64 v[60:61], v[116:117], s[54:55]
	s_delay_alu instid0(VALU_DEP_1) | instskip(NEXT) | instid1(VALU_DEP_1)
	v_fma_f64 v[62:63], v[29:30], s[22:23], -v[60:61]
	v_add_f64 v[21:22], v[62:63], v[21:22]
	v_mul_f64 v[62:63], v[106:107], s[54:55]
	s_delay_alu instid0(VALU_DEP_1) | instskip(NEXT) | instid1(VALU_DEP_1)
	v_fma_f64 v[66:67], v[31:32], s[22:23], v[62:63]
	v_add_f64 v[23:24], v[66:67], v[23:24]
	v_mul_f64 v[66:67], v[104:105], s[38:39]
	s_delay_alu instid0(VALU_DEP_1) | instskip(NEXT) | instid1(VALU_DEP_1)
	v_fma_f64 v[94:95], v[33:34], s[28:29], -v[66:67]
	v_add_f64 v[21:22], v[94:95], v[21:22]
	v_mul_f64 v[94:95], v[102:103], s[38:39]
	s_delay_alu instid0(VALU_DEP_1) | instskip(NEXT) | instid1(VALU_DEP_1)
	v_fma_f64 v[96:97], v[35:36], s[28:29], v[94:95]
	;; [unrolled: 8-line block ×3, first 2 shown]
	v_add_f64 v[23:24], v[154:155], v[23:24]
	v_fma_f64 v[154:155], v[50:51], s[26:27], v[195:196]
	s_delay_alu instid0(VALU_DEP_1) | instskip(SKIP_2) | instid1(VALU_DEP_2)
	v_add_f64 v[25:26], v[154:155], v[25:26]
	v_fma_f64 v[154:155], v[52:53], s[26:27], -v[197:198]
	v_mul_f64 v[197:198], v[134:135], s[54:55]
	v_add_f64 v[27:28], v[154:155], v[27:28]
	v_fma_f64 v[154:155], v[46:47], s[24:25], v[199:200]
	v_mul_f64 v[199:200], v[116:117], s[44:45]
	s_delay_alu instid0(VALU_DEP_2) | instskip(SKIP_2) | instid1(VALU_DEP_2)
	v_add_f64 v[25:26], v[154:155], v[25:26]
	v_fma_f64 v[154:155], v[48:49], s[24:25], -v[253:254]
	v_mul_f64 v[253:254], v[100:101], s[46:47]
	v_add_f64 v[27:28], v[154:155], v[27:28]
	v_fma_f64 v[154:155], v[37:38], s[0:1], v[190:191]
	s_delay_alu instid0(VALU_DEP_2) | instskip(NEXT) | instid1(VALU_DEP_2)
	v_add_f64 v[27:28], v[58:59], v[27:28]
	v_add_f64 v[25:26], v[154:155], v[25:26]
	v_fma_f64 v[58:59], v[29:30], s[22:23], v[60:61]
	v_fma_f64 v[60:61], v[44:45], s[14:15], -v[152:153]
	s_delay_alu instid0(VALU_DEP_2) | instskip(SKIP_2) | instid1(VALU_DEP_2)
	v_add_f64 v[25:26], v[58:59], v[25:26]
	v_fma_f64 v[58:59], v[31:32], s[22:23], -v[62:63]
	v_mul_f64 v[62:63], v[150:151], s[56:57]
	v_add_f64 v[27:28], v[58:59], v[27:28]
	v_fma_f64 v[58:59], v[33:34], s[28:29], v[66:67]
	s_delay_alu instid0(VALU_DEP_3) | instskip(SKIP_1) | instid1(VALU_DEP_3)
	v_fma_f64 v[66:67], v[56:57], s[20:21], v[62:63]
	v_fma_f64 v[62:63], v[56:57], s[20:21], -v[62:63]
	v_add_f64 v[25:26], v[58:59], v[25:26]
	v_fma_f64 v[58:59], v[35:36], s[28:29], -v[94:95]
	v_mul_f64 v[94:95], v[148:149], s[38:39]
	v_add_f64 v[66:67], v[66:67], v[205:206]
	v_mul_f64 v[205:206], v[102:103], s[40:41]
	v_add_f64 v[62:63], v[62:63], v[209:210]
	v_mul_f64 v[209:210], v[106:107], s[40:41]
	v_mul_f64 v[106:107], v[106:107], s[46:47]
	v_add_f64 v[27:28], v[58:59], v[27:28]
	v_fma_f64 v[58:59], v[42:43], s[14:15], v[96:97]
	v_fma_f64 v[96:97], v[50:51], s[28:29], -v[94:95]
	s_delay_alu instid0(VALU_DEP_3) | instskip(NEXT) | instid1(VALU_DEP_3)
	v_add_f64 v[27:28], v[60:61], v[27:28]
	v_add_f64 v[25:26], v[58:59], v[25:26]
	v_mul_f64 v[58:59], v[156:157], s[56:57]
	s_delay_alu instid0(VALU_DEP_1) | instskip(SKIP_1) | instid1(VALU_DEP_2)
	v_fma_f64 v[60:61], v[54:55], s[20:21], -v[58:59]
	v_fma_f64 v[58:59], v[54:55], s[20:21], v[58:59]
	v_add_f64 v[60:61], v[60:61], v[203:204]
	v_mul_f64 v[203:204], v[104:105], s[40:41]
	s_delay_alu instid0(VALU_DEP_3) | instskip(SKIP_4) | instid1(VALU_DEP_1)
	v_add_f64 v[58:59], v[58:59], v[207:208]
	v_mul_f64 v[207:208], v[116:117], s[40:41]
	v_mul_f64 v[116:117], v[116:117], s[46:47]
	v_add_f64 v[60:61], v[96:97], v[60:61]
	v_mul_f64 v[96:97], v[146:147], s[38:39]
	v_fma_f64 v[152:153], v[52:53], s[28:29], v[96:97]
	s_delay_alu instid0(VALU_DEP_1) | instskip(SKIP_1) | instid1(VALU_DEP_1)
	v_add_f64 v[66:67], v[152:153], v[66:67]
	v_mul_f64 v[152:153], v[144:145], s[36:37]
	v_fma_f64 v[154:155], v[46:47], s[12:13], -v[152:153]
	s_delay_alu instid0(VALU_DEP_1) | instskip(SKIP_1) | instid1(VALU_DEP_1)
	v_add_f64 v[60:61], v[154:155], v[60:61]
	v_mul_f64 v[154:155], v[140:141], s[36:37]
	v_fma_f64 v[190:191], v[48:49], s[12:13], v[154:155]
	s_delay_alu instid0(VALU_DEP_1) | instskip(SKIP_1) | instid1(VALU_DEP_1)
	v_add_f64 v[66:67], v[190:191], v[66:67]
	v_mul_f64 v[190:191], v[136:137], s[54:55]
	v_fma_f64 v[193:194], v[37:38], s[22:23], -v[190:191]
	s_delay_alu instid0(VALU_DEP_1) | instskip(SKIP_1) | instid1(VALU_DEP_1)
	v_add_f64 v[60:61], v[193:194], v[60:61]
	v_fma_f64 v[193:194], v[39:40], s[22:23], v[197:198]
	v_add_f64 v[66:67], v[193:194], v[66:67]
	v_fma_f64 v[193:194], v[29:30], s[26:27], -v[199:200]
	s_delay_alu instid0(VALU_DEP_1) | instskip(SKIP_1) | instid1(VALU_DEP_1)
	v_add_f64 v[60:61], v[193:194], v[60:61]
	v_fma_f64 v[193:194], v[31:32], s[26:27], v[201:202]
	v_add_f64 v[66:67], v[193:194], v[66:67]
	;; [unrolled: 5-line block ×3, first 2 shown]
	v_fma_f64 v[193:194], v[42:43], s[24:25], -v[253:254]
	s_delay_alu instid0(VALU_DEP_1) | instskip(SKIP_1) | instid1(VALU_DEP_1)
	v_add_f64 v[193:194], v[193:194], v[60:61]
	v_mul_f64 v[60:61], v[98:99], s[46:47]
	v_fma_f64 v[195:196], v[44:45], s[24:25], v[60:61]
	v_fma_f64 v[60:61], v[44:45], s[24:25], -v[60:61]
	s_delay_alu instid0(VALU_DEP_2) | instskip(SKIP_2) | instid1(VALU_DEP_2)
	v_add_f64 v[195:196], v[195:196], v[66:67]
	v_fma_f64 v[66:67], v[50:51], s[28:29], v[94:95]
	v_mul_f64 v[94:95], v[148:149], s[42:43]
	v_add_f64 v[58:59], v[66:67], v[58:59]
	v_fma_f64 v[66:67], v[52:53], s[28:29], -v[96:97]
	s_delay_alu instid0(VALU_DEP_3) | instskip(NEXT) | instid1(VALU_DEP_2)
	v_fma_f64 v[96:97], v[50:51], s[22:23], -v[94:95]
	v_add_f64 v[62:63], v[66:67], v[62:63]
	v_fma_f64 v[66:67], v[46:47], s[12:13], v[152:153]
	s_delay_alu instid0(VALU_DEP_1) | instskip(SKIP_1) | instid1(VALU_DEP_1)
	v_add_f64 v[58:59], v[66:67], v[58:59]
	v_fma_f64 v[66:67], v[48:49], s[12:13], -v[154:155]
	v_add_f64 v[62:63], v[66:67], v[62:63]
	v_fma_f64 v[66:67], v[37:38], s[22:23], v[190:191]
	s_delay_alu instid0(VALU_DEP_1) | instskip(SKIP_1) | instid1(VALU_DEP_1)
	v_add_f64 v[58:59], v[66:67], v[58:59]
	;; [unrolled: 5-line block ×3, first 2 shown]
	v_fma_f64 v[66:67], v[31:32], s[26:27], -v[201:202]
	v_add_f64 v[62:63], v[66:67], v[62:63]
	v_fma_f64 v[66:67], v[33:34], s[0:1], v[203:204]
	s_delay_alu instid0(VALU_DEP_1) | instskip(SKIP_3) | instid1(VALU_DEP_3)
	v_add_f64 v[58:59], v[66:67], v[58:59]
	v_fma_f64 v[66:67], v[35:36], s[0:1], -v[205:206]
	v_mul_f64 v[205:206], v[134:135], s[38:39]
	v_mul_f64 v[134:135], v[134:135], s[34:35]
	v_add_f64 v[62:63], v[66:67], v[62:63]
	v_fma_f64 v[66:67], v[42:43], s[24:25], v[253:254]
	v_mul_f64 v[253:254], v[100:101], s[30:31]
	s_delay_alu instid0(VALU_DEP_3) | instskip(NEXT) | instid1(VALU_DEP_3)
	v_add_f64 v[199:200], v[60:61], v[62:63]
	v_add_f64 v[197:198], v[66:67], v[58:59]
	v_mul_f64 v[58:59], v[156:157], s[46:47]
	v_mul_f64 v[62:63], v[150:151], s[46:47]
	s_delay_alu instid0(VALU_DEP_2) | instskip(NEXT) | instid1(VALU_DEP_2)
	v_fma_f64 v[60:61], v[54:55], s[24:25], -v[58:59]
	v_fma_f64 v[66:67], v[56:57], s[24:25], v[62:63]
	v_fma_f64 v[58:59], v[54:55], s[24:25], v[58:59]
	v_fma_f64 v[62:63], v[56:57], s[24:25], -v[62:63]
	s_delay_alu instid0(VALU_DEP_4) | instskip(NEXT) | instid1(VALU_DEP_4)
	v_add_f64 v[60:61], v[60:61], v[211:212]
	v_add_f64 v[66:67], v[66:67], v[213:214]
	v_mul_f64 v[211:212], v[104:105], s[50:51]
	v_mul_f64 v[213:214], v[102:103], s[50:51]
	v_add_f64 v[58:59], v[58:59], v[215:216]
	v_add_f64 v[62:63], v[62:63], v[217:218]
	v_mul_f64 v[104:105], v[104:105], s[30:31]
	v_mul_f64 v[102:103], v[102:103], s[30:31]
	v_add_f64 v[60:61], v[96:97], v[60:61]
	v_mul_f64 v[96:97], v[146:147], s[42:43]
	s_delay_alu instid0(VALU_DEP_1) | instskip(NEXT) | instid1(VALU_DEP_1)
	v_fma_f64 v[152:153], v[52:53], s[22:23], v[96:97]
	v_add_f64 v[66:67], v[152:153], v[66:67]
	v_mul_f64 v[152:153], v[144:145], s[58:59]
	v_mul_f64 v[144:145], v[144:145], s[50:51]
	s_delay_alu instid0(VALU_DEP_2) | instskip(NEXT) | instid1(VALU_DEP_1)
	v_fma_f64 v[154:155], v[46:47], s[14:15], -v[152:153]
	v_add_f64 v[60:61], v[154:155], v[60:61]
	v_mul_f64 v[154:155], v[140:141], s[58:59]
	v_mul_f64 v[140:141], v[140:141], s[50:51]
	s_delay_alu instid0(VALU_DEP_2) | instskip(NEXT) | instid1(VALU_DEP_1)
	v_fma_f64 v[190:191], v[48:49], s[14:15], v[154:155]
	v_add_f64 v[66:67], v[190:191], v[66:67]
	v_mul_f64 v[190:191], v[136:137], s[38:39]
	v_mul_f64 v[136:137], v[136:137], s[34:35]
	s_delay_alu instid0(VALU_DEP_2) | instskip(NEXT) | instid1(VALU_DEP_1)
	v_fma_f64 v[201:202], v[37:38], s[28:29], -v[190:191]
	v_add_f64 v[60:61], v[201:202], v[60:61]
	v_fma_f64 v[201:202], v[39:40], s[28:29], v[205:206]
	s_delay_alu instid0(VALU_DEP_1) | instskip(SKIP_1) | instid1(VALU_DEP_1)
	v_add_f64 v[66:67], v[201:202], v[66:67]
	v_fma_f64 v[201:202], v[29:30], s[0:1], -v[207:208]
	v_add_f64 v[60:61], v[201:202], v[60:61]
	v_fma_f64 v[201:202], v[31:32], s[0:1], v[209:210]
	s_delay_alu instid0(VALU_DEP_1) | instskip(SKIP_1) | instid1(VALU_DEP_1)
	v_add_f64 v[66:67], v[201:202], v[66:67]
	v_fma_f64 v[201:202], v[33:34], s[26:27], -v[211:212]
	v_add_f64 v[60:61], v[201:202], v[60:61]
	v_fma_f64 v[201:202], v[35:36], s[26:27], v[213:214]
	s_delay_alu instid0(VALU_DEP_1) | instskip(SKIP_1) | instid1(VALU_DEP_1)
	v_add_f64 v[66:67], v[201:202], v[66:67]
	v_fma_f64 v[201:202], v[42:43], s[20:21], -v[253:254]
	v_add_f64 v[201:202], v[201:202], v[60:61]
	v_mul_f64 v[60:61], v[98:99], s[30:31]
	s_delay_alu instid0(VALU_DEP_1) | instskip(SKIP_1) | instid1(VALU_DEP_2)
	v_fma_f64 v[203:204], v[44:45], s[20:21], v[60:61]
	v_fma_f64 v[60:61], v[44:45], s[20:21], -v[60:61]
	v_add_f64 v[203:204], v[203:204], v[66:67]
	v_fma_f64 v[66:67], v[50:51], s[22:23], v[94:95]
	v_mul_f64 v[94:95], v[148:149], s[36:37]
	v_mul_f64 v[148:149], v[98:99], s[54:55]
	s_delay_alu instid0(VALU_DEP_3) | instskip(SKIP_1) | instid1(VALU_DEP_4)
	v_add_f64 v[58:59], v[66:67], v[58:59]
	v_fma_f64 v[66:67], v[52:53], s[22:23], -v[96:97]
	v_fma_f64 v[96:97], v[50:51], s[12:13], -v[94:95]
	s_delay_alu instid0(VALU_DEP_2) | instskip(SKIP_1) | instid1(VALU_DEP_1)
	v_add_f64 v[62:63], v[66:67], v[62:63]
	v_fma_f64 v[66:67], v[46:47], s[14:15], v[152:153]
	v_add_f64 v[58:59], v[66:67], v[58:59]
	v_fma_f64 v[66:67], v[48:49], s[14:15], -v[154:155]
	s_delay_alu instid0(VALU_DEP_1) | instskip(SKIP_1) | instid1(VALU_DEP_1)
	v_add_f64 v[62:63], v[66:67], v[62:63]
	v_fma_f64 v[66:67], v[37:38], s[28:29], v[190:191]
	v_add_f64 v[58:59], v[66:67], v[58:59]
	v_fma_f64 v[66:67], v[39:40], s[28:29], -v[205:206]
	s_delay_alu instid0(VALU_DEP_1) | instskip(SKIP_1) | instid1(VALU_DEP_1)
	;; [unrolled: 5-line block ×3, first 2 shown]
	v_add_f64 v[62:63], v[66:67], v[62:63]
	v_fma_f64 v[66:67], v[33:34], s[26:27], v[211:212]
	v_add_f64 v[58:59], v[66:67], v[58:59]
	v_fma_f64 v[66:67], v[35:36], s[26:27], -v[213:214]
	s_delay_alu instid0(VALU_DEP_1) | instskip(SKIP_1) | instid1(VALU_DEP_2)
	v_add_f64 v[62:63], v[66:67], v[62:63]
	v_fma_f64 v[66:67], v[42:43], s[20:21], v[253:254]
	v_add_f64 v[207:208], v[60:61], v[62:63]
	s_delay_alu instid0(VALU_DEP_2) | instskip(SKIP_2) | instid1(VALU_DEP_2)
	v_add_f64 v[205:206], v[66:67], v[58:59]
	v_mul_f64 v[58:59], v[156:157], s[48:49]
	v_mul_f64 v[62:63], v[150:151], s[48:49]
	v_fma_f64 v[60:61], v[54:55], s[28:29], -v[58:59]
	s_delay_alu instid0(VALU_DEP_2) | instskip(SKIP_1) | instid1(VALU_DEP_3)
	v_fma_f64 v[66:67], v[56:57], s[28:29], v[62:63]
	v_fma_f64 v[58:59], v[54:55], s[28:29], v[58:59]
	v_add_f64 v[60:61], v[60:61], v[219:220]
	s_delay_alu instid0(VALU_DEP_3) | instskip(NEXT) | instid1(VALU_DEP_3)
	v_add_f64 v[66:67], v[66:67], v[221:222]
	v_add_f64 v[58:59], v[58:59], v[188:189]
	s_delay_alu instid0(VALU_DEP_3) | instskip(SKIP_1) | instid1(VALU_DEP_1)
	v_add_f64 v[60:61], v[96:97], v[60:61]
	v_mul_f64 v[96:97], v[146:147], s[36:37]
	v_fma_f64 v[146:147], v[52:53], s[12:13], v[96:97]
	s_delay_alu instid0(VALU_DEP_1) | instskip(SKIP_1) | instid1(VALU_DEP_1)
	v_add_f64 v[66:67], v[146:147], v[66:67]
	v_fma_f64 v[146:147], v[46:47], s[26:27], -v[144:145]
	v_add_f64 v[60:61], v[146:147], v[60:61]
	v_fma_f64 v[146:147], v[48:49], s[26:27], v[140:141]
	s_delay_alu instid0(VALU_DEP_1) | instskip(SKIP_1) | instid1(VALU_DEP_1)
	v_add_f64 v[66:67], v[146:147], v[66:67]
	v_fma_f64 v[146:147], v[37:38], s[14:15], -v[136:137]
	v_add_f64 v[60:61], v[146:147], v[60:61]
	;; [unrolled: 5-line block ×4, first 2 shown]
	v_fma_f64 v[146:147], v[35:36], s[20:21], v[102:103]
	s_delay_alu instid0(VALU_DEP_1) | instskip(SKIP_1) | instid1(VALU_DEP_1)
	v_add_f64 v[66:67], v[146:147], v[66:67]
	v_mul_f64 v[146:147], v[100:101], s[54:55]
	v_fma_f64 v[98:99], v[42:43], s[22:23], -v[146:147]
	s_delay_alu instid0(VALU_DEP_1) | instskip(SKIP_1) | instid1(VALU_DEP_1)
	v_add_f64 v[98:99], v[98:99], v[60:61]
	v_fma_f64 v[60:61], v[44:45], s[22:23], v[148:149]
	v_add_f64 v[100:101], v[60:61], v[66:67]
	v_fma_f64 v[60:61], v[56:57], s[28:29], -v[62:63]
	v_fma_f64 v[62:63], v[50:51], s[12:13], v[94:95]
	v_fma_f64 v[66:67], v[44:45], s[22:23], -v[148:149]
	s_delay_alu instid0(VALU_DEP_3) | instskip(NEXT) | instid1(VALU_DEP_3)
	v_add_f64 v[60:61], v[60:61], v[186:187]
	v_add_f64 v[58:59], v[62:63], v[58:59]
	v_fma_f64 v[62:63], v[52:53], s[12:13], -v[96:97]
	s_delay_alu instid0(VALU_DEP_1) | instskip(SKIP_1) | instid1(VALU_DEP_1)
	v_add_f64 v[60:61], v[62:63], v[60:61]
	v_fma_f64 v[62:63], v[46:47], s[26:27], v[144:145]
	v_add_f64 v[58:59], v[62:63], v[58:59]
	v_fma_f64 v[62:63], v[48:49], s[26:27], -v[140:141]
	s_delay_alu instid0(VALU_DEP_1) | instskip(SKIP_1) | instid1(VALU_DEP_1)
	v_add_f64 v[60:61], v[62:63], v[60:61]
	v_fma_f64 v[62:63], v[37:38], s[14:15], v[136:137]
	;; [unrolled: 5-line block ×4, first 2 shown]
	v_add_f64 v[58:59], v[62:63], v[58:59]
	v_fma_f64 v[62:63], v[35:36], s[20:21], -v[102:103]
	s_delay_alu instid0(VALU_DEP_1) | instskip(SKIP_1) | instid1(VALU_DEP_2)
	v_add_f64 v[60:61], v[62:63], v[60:61]
	v_fma_f64 v[62:63], v[42:43], s[22:23], v[146:147]
	v_add_f64 v[104:105], v[66:67], v[60:61]
	scratch_load_b64 v[60:61], off, off offset:56 ; 8-byte Folded Reload
	v_add_f64 v[102:103], v[62:63], v[58:59]
	scratch_load_b64 v[62:63], off, off offset:48 ; 8-byte Folded Reload
	v_fma_f64 v[58:59], v[54:55], s[0:1], v[223:224]
	v_fma_f64 v[66:67], v[44:45], s[26:27], -v[251:252]
	s_waitcnt vmcnt(1)
	s_delay_alu instid0(VALU_DEP_2) | instskip(SKIP_2) | instid1(VALU_DEP_1)
	v_add_f64 v[58:59], v[58:59], v[60:61]
	v_fma_f64 v[60:61], v[56:57], s[0:1], -v[225:226]
	s_waitcnt vmcnt(0)
	v_add_f64 v[60:61], v[60:61], v[62:63]
	v_fma_f64 v[62:63], v[50:51], s[20:21], v[227:228]
	s_delay_alu instid0(VALU_DEP_1) | instskip(SKIP_1) | instid1(VALU_DEP_1)
	v_add_f64 v[58:59], v[62:63], v[58:59]
	v_fma_f64 v[62:63], v[52:53], s[20:21], -v[229:230]
	v_add_f64 v[60:61], v[62:63], v[60:61]
	v_fma_f64 v[62:63], v[46:47], s[28:29], v[231:232]
	s_delay_alu instid0(VALU_DEP_1) | instskip(SKIP_1) | instid1(VALU_DEP_1)
	v_add_f64 v[58:59], v[62:63], v[58:59]
	v_fma_f64 v[62:63], v[48:49], s[28:29], -v[233:234]
	;; [unrolled: 5-line block ×5, first 2 shown]
	v_add_f64 v[60:61], v[62:63], v[60:61]
	v_fma_f64 v[62:63], v[42:43], s[26:27], v[249:250]
	s_delay_alu instid0(VALU_DEP_2)
	v_add_f64 v[136:137], v[66:67], v[60:61]
	scratch_load_b64 v[60:61], off, off offset:40 ; 8-byte Folded Reload
	v_add_f64 v[134:135], v[62:63], v[58:59]
	scratch_load_b64 v[62:63], off, off offset:32 ; 8-byte Folded Reload
	v_fma_f64 v[58:59], v[54:55], s[14:15], v[158:159]
	v_fma_f64 v[66:67], v[44:45], s[12:13], -v[184:185]
	s_waitcnt vmcnt(1)
	s_delay_alu instid0(VALU_DEP_2) | instskip(SKIP_2) | instid1(VALU_DEP_1)
	v_add_f64 v[58:59], v[58:59], v[60:61]
	v_fma_f64 v[60:61], v[56:57], s[14:15], -v[160:161]
	s_waitcnt vmcnt(0)
	v_add_f64 v[60:61], v[60:61], v[62:63]
	v_fma_f64 v[62:63], v[50:51], s[0:1], v[162:163]
	s_delay_alu instid0(VALU_DEP_1) | instskip(SKIP_1) | instid1(VALU_DEP_1)
	v_add_f64 v[58:59], v[62:63], v[58:59]
	v_fma_f64 v[62:63], v[52:53], s[0:1], -v[164:165]
	v_add_f64 v[60:61], v[62:63], v[60:61]
	v_fma_f64 v[62:63], v[46:47], s[20:21], v[166:167]
	s_delay_alu instid0(VALU_DEP_1) | instskip(SKIP_1) | instid1(VALU_DEP_1)
	v_add_f64 v[58:59], v[62:63], v[58:59]
	v_fma_f64 v[62:63], v[48:49], s[20:21], -v[168:169]
	;; [unrolled: 5-line block ×5, first 2 shown]
	v_add_f64 v[60:61], v[62:63], v[60:61]
	v_fma_f64 v[62:63], v[42:43], s[12:13], v[182:183]
	s_delay_alu instid0(VALU_DEP_2)
	v_add_f64 v[96:97], v[66:67], v[60:61]
	scratch_load_b64 v[60:61], off, off offset:24 ; 8-byte Folded Reload
	v_add_f64 v[94:95], v[62:63], v[58:59]
	scratch_load_b64 v[62:63], off, off offset:16 ; 8-byte Folded Reload
	v_fma_f64 v[58:59], v[54:55], s[22:23], v[108:109]
	v_fma_f64 v[54:55], v[54:55], s[26:27], v[64:65]
	v_fma_f64 v[66:67], v[44:45], s[28:29], -v[142:143]
	s_waitcnt vmcnt(1)
	s_delay_alu instid0(VALU_DEP_3) | instskip(SKIP_3) | instid1(VALU_DEP_2)
	v_add_f64 v[58:59], v[58:59], v[60:61]
	v_fma_f64 v[60:61], v[56:57], s[22:23], -v[110:111]
	v_fma_f64 v[56:57], v[56:57], s[26:27], -v[68:69]
	s_waitcnt vmcnt(0)
	v_add_f64 v[60:61], v[60:61], v[62:63]
	v_fma_f64 v[62:63], v[50:51], s[14:15], v[112:113]
	v_fma_f64 v[50:51], v[50:51], s[24:25], v[70:71]
	s_delay_alu instid0(VALU_DEP_2) | instskip(SKIP_2) | instid1(VALU_DEP_2)
	v_add_f64 v[58:59], v[62:63], v[58:59]
	v_fma_f64 v[62:63], v[52:53], s[14:15], -v[114:115]
	v_fma_f64 v[52:53], v[52:53], s[24:25], -v[72:73]
	v_add_f64 v[60:61], v[62:63], v[60:61]
	v_fma_f64 v[62:63], v[46:47], s[0:1], v[118:119]
	v_fma_f64 v[46:47], v[46:47], s[22:23], v[74:75]
	s_delay_alu instid0(VALU_DEP_2) | instskip(SKIP_2) | instid1(VALU_DEP_2)
	v_add_f64 v[58:59], v[62:63], v[58:59]
	v_fma_f64 v[62:63], v[48:49], s[0:1], -v[120:121]
	v_fma_f64 v[48:49], v[48:49], s[22:23], -v[76:77]
	;; [unrolled: 7-line block ×5, first 2 shown]
	v_add_f64 v[60:61], v[62:63], v[60:61]
	v_fma_f64 v[62:63], v[42:43], s[28:29], v[138:139]
	s_delay_alu instid0(VALU_DEP_2) | instskip(NEXT) | instid1(VALU_DEP_2)
	v_add_f64 v[108:109], v[66:67], v[60:61]
	v_add_f64 v[106:107], v[62:63], v[58:59]
	scratch_load_b64 v[58:59], off, off     ; 8-byte Folded Reload
	s_waitcnt vmcnt(0)
	v_add_f64 v[54:55], v[54:55], v[58:59]
	scratch_load_b64 v[58:59], off, off offset:8 ; 8-byte Folded Reload
	s_waitcnt vmcnt(0)
	s_waitcnt_vscnt null, 0x0
	s_barrier
	buffer_gl0_inv
	v_add_f64 v[50:51], v[50:51], v[54:55]
	s_delay_alu instid0(VALU_DEP_1) | instskip(NEXT) | instid1(VALU_DEP_1)
	v_add_f64 v[46:47], v[46:47], v[50:51]
	v_add_f64 v[37:38], v[37:38], v[46:47]
	s_delay_alu instid0(VALU_DEP_1) | instskip(NEXT) | instid1(VALU_DEP_1)
	v_add_f64 v[29:30], v[29:30], v[37:38]
	v_add_f64 v[29:30], v[33:34], v[29:30]
	v_fma_f64 v[33:34], v[42:43], s[0:1], v[90:91]
	s_delay_alu instid0(VALU_DEP_1)
	v_add_f64 v[29:30], v[33:34], v[29:30]
	v_mad_u32_u24 v33, 0x110, v0, v192
	ds_store_b128 v33, v[5:8]
	ds_store_b128 v33, v[1:4] offset:16
	ds_store_b128 v33, v[9:12] offset:32
	ds_store_b128 v33, v[13:16] offset:48
	ds_store_b128 v33, v[17:20] offset:64
	ds_store_b128 v33, v[21:24] offset:80
	ds_store_b128 v33, v[193:196] offset:96
	ds_store_b128 v33, v[201:204] offset:112
	ds_store_b128 v33, v[98:101] offset:128
	ds_store_b128 v33, v[102:105] offset:144
	ds_store_b128 v33, v[205:208] offset:160
	ds_store_b128 v33, v[197:200] offset:176
	ds_store_b128 v33, v[25:28] offset:192
	ds_store_b128 v33, v[134:137] offset:208
	ds_store_b128 v33, v[94:97] offset:224
	ds_store_b128 v33, v[106:109] offset:240
	v_lshlrev_b32_e32 v5, 8, v0
	v_add_f64 v[56:57], v[56:57], v[58:59]
	s_delay_alu instid0(VALU_DEP_1) | instskip(NEXT) | instid1(VALU_DEP_1)
	v_add_f64 v[52:53], v[52:53], v[56:57]
	v_add_f64 v[48:49], v[48:49], v[52:53]
	s_delay_alu instid0(VALU_DEP_1) | instskip(NEXT) | instid1(VALU_DEP_1)
	v_add_f64 v[39:40], v[39:40], v[48:49]
	v_add_f64 v[31:32], v[31:32], v[39:40]
	s_delay_alu instid0(VALU_DEP_1) | instskip(SKIP_1) | instid1(VALU_DEP_1)
	v_add_f64 v[31:32], v[35:36], v[31:32]
	v_fma_f64 v[35:36], v[44:45], s[0:1], -v[92:93]
	v_add_f64 v[31:32], v[35:36], v[31:32]
	ds_store_b128 v33, v[29:32] offset:256
	s_waitcnt lgkmcnt(0)
	s_barrier
	buffer_gl0_inv
	s_clause 0x3
	global_load_b128 v[1:4], v5, s[4:5]
	global_load_b128 v[6:9], v5, s[4:5] offset:16
	global_load_b128 v[10:13], v5, s[4:5] offset:32
	global_load_b128 v[14:17], v5, s[4:5] offset:48
	ds_load_b128 v[18:21], v238 offset:272
	ds_load_b128 v[106:109], v237
	ds_load_b128 v[22:25], v238 offset:544
	ds_load_b128 v[26:29], v238 offset:816
	s_waitcnt vmcnt(3) lgkmcnt(3)
	v_mul_f64 v[30:31], v[20:21], v[3:4]
	v_mul_f64 v[3:4], v[18:19], v[3:4]
	s_waitcnt vmcnt(2) lgkmcnt(1)
	v_mul_f64 v[32:33], v[24:25], v[8:9]
	s_delay_alu instid0(VALU_DEP_3) | instskip(NEXT) | instid1(VALU_DEP_3)
	v_fma_f64 v[18:19], v[18:19], v[1:2], -v[30:31]
	v_fma_f64 v[20:21], v[20:21], v[1:2], v[3:4]
	v_mul_f64 v[1:2], v[22:23], v[8:9]
	s_waitcnt vmcnt(1) lgkmcnt(0)
	v_mul_f64 v[30:31], v[28:29], v[12:13]
	v_mul_f64 v[12:13], v[26:27], v[12:13]
	v_fma_f64 v[42:43], v[22:23], v[6:7], -v[32:33]
	s_delay_alu instid0(VALU_DEP_4)
	v_fma_f64 v[44:45], v[24:25], v[6:7], v[1:2]
	ds_load_b128 v[6:9], v238 offset:1088
	global_load_b128 v[1:4], v5, s[4:5] offset:64
	v_fma_f64 v[37:38], v[26:27], v[10:11], -v[30:31]
	v_fma_f64 v[39:40], v[28:29], v[10:11], v[12:13]
	ds_load_b128 v[10:13], v238 offset:1360
	s_waitcnt vmcnt(1) lgkmcnt(1)
	v_mul_f64 v[22:23], v[8:9], v[16:17]
	v_mul_f64 v[16:17], v[6:7], v[16:17]
	s_delay_alu instid0(VALU_DEP_2) | instskip(NEXT) | instid1(VALU_DEP_2)
	v_fma_f64 v[46:47], v[6:7], v[14:15], -v[22:23]
	v_fma_f64 v[48:49], v[8:9], v[14:15], v[16:17]
	global_load_b128 v[6:9], v5, s[4:5] offset:80
	s_waitcnt vmcnt(1) lgkmcnt(0)
	v_mul_f64 v[14:15], v[12:13], v[3:4]
	v_mul_f64 v[3:4], v[10:11], v[3:4]
	s_delay_alu instid0(VALU_DEP_2) | instskip(NEXT) | instid1(VALU_DEP_2)
	v_fma_f64 v[50:51], v[10:11], v[1:2], -v[14:15]
	v_fma_f64 v[52:53], v[12:13], v[1:2], v[3:4]
	ds_load_b128 v[1:4], v238 offset:1632
	ds_load_b128 v[10:13], v238 offset:1904
	s_waitcnt vmcnt(0) lgkmcnt(1)
	v_mul_f64 v[14:15], v[3:4], v[8:9]
	s_delay_alu instid0(VALU_DEP_1) | instskip(SKIP_1) | instid1(VALU_DEP_1)
	v_fma_f64 v[54:55], v[1:2], v[6:7], -v[14:15]
	v_mul_f64 v[1:2], v[1:2], v[8:9]
	v_fma_f64 v[56:57], v[3:4], v[6:7], v[1:2]
	s_clause 0x1
	global_load_b128 v[1:4], v5, s[4:5] offset:96
	global_load_b128 v[6:9], v5, s[4:5] offset:112
	s_waitcnt vmcnt(1) lgkmcnt(0)
	v_mul_f64 v[14:15], v[12:13], v[3:4]
	v_mul_f64 v[3:4], v[10:11], v[3:4]
	s_delay_alu instid0(VALU_DEP_2) | instskip(NEXT) | instid1(VALU_DEP_2)
	v_fma_f64 v[58:59], v[10:11], v[1:2], -v[14:15]
	v_fma_f64 v[60:61], v[12:13], v[1:2], v[3:4]
	ds_load_b128 v[1:4], v238 offset:2176
	ds_load_b128 v[10:13], v238 offset:2448
	s_waitcnt vmcnt(0) lgkmcnt(1)
	v_mul_f64 v[14:15], v[3:4], v[8:9]
	s_delay_alu instid0(VALU_DEP_1) | instskip(SKIP_1) | instid1(VALU_DEP_1)
	v_fma_f64 v[62:63], v[1:2], v[6:7], -v[14:15]
	v_mul_f64 v[1:2], v[1:2], v[8:9]
	v_fma_f64 v[64:65], v[3:4], v[6:7], v[1:2]
	s_clause 0x1
	global_load_b128 v[1:4], v5, s[4:5] offset:128
	global_load_b128 v[6:9], v5, s[4:5] offset:144
	s_waitcnt vmcnt(1) lgkmcnt(0)
	v_mul_f64 v[14:15], v[12:13], v[3:4]
	v_mul_f64 v[3:4], v[10:11], v[3:4]
	s_delay_alu instid0(VALU_DEP_2) | instskip(NEXT) | instid1(VALU_DEP_2)
	v_fma_f64 v[66:67], v[10:11], v[1:2], -v[14:15]
	v_fma_f64 v[68:69], v[12:13], v[1:2], v[3:4]
	ds_load_b128 v[1:4], v238 offset:2720
	ds_load_b128 v[10:13], v238 offset:2992
	s_waitcnt vmcnt(0) lgkmcnt(1)
	v_mul_f64 v[14:15], v[3:4], v[8:9]
	v_add_f64 v[241:242], v[62:63], -v[66:67]
	v_add_f64 v[239:240], v[64:65], -v[68:69]
	s_delay_alu instid0(VALU_DEP_3) | instskip(SKIP_1) | instid1(VALU_DEP_4)
	v_fma_f64 v[70:71], v[1:2], v[6:7], -v[14:15]
	v_mul_f64 v[1:2], v[1:2], v[8:9]
	v_mul_f64 v[196:197], v[241:242], s[40:41]
	s_delay_alu instid0(VALU_DEP_4)
	v_mul_f64 v[192:193], v[239:240], s[40:41]
	v_mul_f64 v[228:229], v[241:242], s[48:49]
	v_add_f64 v[236:237], v[58:59], -v[70:71]
	v_fma_f64 v[72:73], v[3:4], v[6:7], v[1:2]
	s_clause 0x1
	global_load_b128 v[1:4], v5, s[4:5] offset:160
	global_load_b128 v[6:9], v5, s[4:5] offset:176
	v_mul_f64 v[180:181], v[236:237], s[36:37]
	v_add_f64 v[234:235], v[60:61], -v[72:73]
	s_delay_alu instid0(VALU_DEP_1) | instskip(SKIP_3) | instid1(VALU_DEP_2)
	v_mul_f64 v[176:177], v[234:235], s[36:37]
	s_waitcnt vmcnt(1) lgkmcnt(0)
	v_mul_f64 v[14:15], v[12:13], v[3:4]
	v_mul_f64 v[3:4], v[10:11], v[3:4]
	v_fma_f64 v[74:75], v[10:11], v[1:2], -v[14:15]
	s_delay_alu instid0(VALU_DEP_2)
	v_fma_f64 v[76:77], v[12:13], v[1:2], v[3:4]
	ds_load_b128 v[1:4], v238 offset:3264
	ds_load_b128 v[10:13], v238 offset:3536
	s_waitcnt vmcnt(0) lgkmcnt(1)
	v_mul_f64 v[14:15], v[3:4], v[8:9]
	v_add_f64 v[232:233], v[54:55], -v[74:75]
	v_add_f64 v[230:231], v[56:57], -v[76:77]
	s_delay_alu instid0(VALU_DEP_3)
	v_fma_f64 v[80:81], v[1:2], v[6:7], -v[14:15]
	v_mul_f64 v[1:2], v[1:2], v[8:9]
	global_load_b128 v[14:17], v5, s[4:5] offset:224
	v_mul_f64 v[164:165], v[232:233], s[34:35]
	v_mul_f64 v[160:161], v[230:231], s[34:35]
	v_add_f64 v[200:201], v[50:51], -v[80:81]
	v_fma_f64 v[82:83], v[3:4], v[6:7], v[1:2]
	global_load_b128 v[1:4], v5, s[4:5] offset:240
	ds_load_b128 v[6:9], v238 offset:4352
	v_add_f64 v[198:199], v[52:53], -v[82:83]
	s_waitcnt vmcnt(0) lgkmcnt(0)
	v_mul_f64 v[22:23], v[6:7], v[3:4]
	v_mul_f64 v[3:4], v[8:9], v[3:4]
	s_delay_alu instid0(VALU_DEP_2) | instskip(NEXT) | instid1(VALU_DEP_2)
	v_fma_f64 v[78:79], v[8:9], v[1:2], v[22:23]
	v_fma_f64 v[84:85], v[6:7], v[1:2], -v[3:4]
	s_clause 0x1
	global_load_b128 v[1:4], v5, s[4:5] offset:192
	global_load_b128 v[5:8], v5, s[4:5] offset:208
	v_add_f64 v[104:105], v[20:21], v[78:79]
	s_waitcnt vmcnt(1)
	v_mul_f64 v[22:23], v[12:13], v[3:4]
	v_mul_f64 v[3:4], v[10:11], v[3:4]
	s_delay_alu instid0(VALU_DEP_2) | instskip(NEXT) | instid1(VALU_DEP_2)
	v_fma_f64 v[86:87], v[10:11], v[1:2], -v[22:23]
	v_fma_f64 v[88:89], v[12:13], v[1:2], v[3:4]
	ds_load_b128 v[1:4], v238 offset:3808
	ds_load_b128 v[9:12], v238 offset:4080
	s_waitcnt vmcnt(0) lgkmcnt(1)
	v_mul_f64 v[22:23], v[3:4], v[7:8]
	v_add_f64 v[188:189], v[46:47], -v[86:87]
	v_add_f64 v[186:187], v[48:49], -v[88:89]
	s_delay_alu instid0(VALU_DEP_3) | instskip(SKIP_2) | instid1(VALU_DEP_3)
	v_fma_f64 v[90:91], v[1:2], v[5:6], -v[22:23]
	v_mul_f64 v[1:2], v[1:2], v[7:8]
	v_add_f64 v[22:23], v[18:19], v[84:85]
	v_add_f64 v[172:173], v[37:38], -v[90:91]
	s_delay_alu instid0(VALU_DEP_3) | instskip(SKIP_2) | instid1(VALU_DEP_2)
	v_fma_f64 v[92:93], v[3:4], v[5:6], v[1:2]
	s_waitcnt lgkmcnt(0)
	v_mul_f64 v[1:2], v[11:12], v[16:17]
	v_add_f64 v[170:171], v[39:40], -v[92:93]
	s_delay_alu instid0(VALU_DEP_2) | instskip(SKIP_1) | instid1(VALU_DEP_2)
	v_fma_f64 v[94:95], v[9:10], v[14:15], -v[1:2]
	v_mul_f64 v[1:2], v[9:10], v[16:17]
	v_add_f64 v[152:153], v[42:43], -v[94:95]
	s_delay_alu instid0(VALU_DEP_2) | instskip(SKIP_1) | instid1(VALU_DEP_1)
	v_fma_f64 v[96:97], v[11:12], v[14:15], v[1:2]
	v_add_f64 v[1:2], v[20:21], -v[78:79]
	v_mul_f64 v[9:10], v[1:2], s[42:43]
	v_mul_f64 v[3:4], v[1:2], s[38:39]
	;; [unrolled: 1-line block ×8, first 2 shown]
	v_fma_f64 v[30:31], v[22:23], s[22:23], -v[9:10]
	v_fma_f64 v[32:33], v[22:23], s[22:23], v[9:10]
	v_add_f64 v[9:10], v[18:19], -v[84:85]
	v_fma_f64 v[24:25], v[22:23], s[28:29], -v[3:4]
	v_fma_f64 v[3:4], v[22:23], s[28:29], v[3:4]
	v_fma_f64 v[26:27], v[22:23], s[26:27], -v[5:6]
	v_fma_f64 v[5:6], v[22:23], s[26:27], v[5:6]
	;; [unrolled: 2-line block ×7, first 2 shown]
	v_mul_f64 v[11:12], v[9:10], s[38:39]
	v_mul_f64 v[13:14], v[9:10], s[44:45]
	;; [unrolled: 1-line block ×8, first 2 shown]
	v_add_f64 v[5:6], v[106:107], v[5:6]
	v_add_f64 v[3:4], v[106:107], v[3:4]
	;; [unrolled: 1-line block ×7, first 2 shown]
	v_mul_f64 v[120:121], v[170:171], s[52:53]
	v_mul_f64 v[116:117], v[152:153], s[44:45]
	;; [unrolled: 1-line block ×3, first 2 shown]
	v_fma_f64 v[110:111], v[104:105], s[28:29], v[11:12]
	v_fma_f64 v[112:113], v[104:105], s[26:27], v[13:14]
	v_fma_f64 v[13:14], v[104:105], s[26:27], -v[13:14]
	v_fma_f64 v[11:12], v[104:105], s[28:29], -v[11:12]
	;; [unrolled: 1-line block ×3, first 2 shown]
	v_fma_f64 v[126:127], v[104:105], s[24:25], v[15:16]
	v_fma_f64 v[128:129], v[104:105], s[24:25], -v[15:16]
	v_fma_f64 v[146:147], v[104:105], s[0:1], v[9:10]
	v_fma_f64 v[150:151], v[104:105], s[0:1], -v[9:10]
	v_add_f64 v[9:10], v[106:107], v[18:19]
	scratch_store_b64 off, v[5:6], off offset:56 ; 8-byte Folded Spill
	v_fma_f64 v[130:131], v[104:105], s[22:23], v[22:23]
	v_fma_f64 v[132:133], v[104:105], s[22:23], -v[22:23]
	v_fma_f64 v[134:135], v[104:105], s[20:21], v[98:99]
	v_fma_f64 v[138:139], v[104:105], s[14:15], v[100:101]
	v_fma_f64 v[140:141], v[104:105], s[14:15], -v[100:101]
	v_fma_f64 v[142:143], v[104:105], s[12:13], v[102:103]
	v_fma_f64 v[144:145], v[104:105], s[12:13], -v[102:103]
	v_add_f64 v[15:16], v[106:107], v[28:29]
	v_add_f64 v[5:6], v[108:109], v[13:14]
	;; [unrolled: 1-line block ×8, first 2 shown]
	scratch_store_b64 off, v[9:10], off     ; 8-byte Folded Spill
	v_add_f64 v[9:10], v[108:109], v[20:21]
	v_add_f64 v[21:22], v[108:109], v[130:131]
	v_add_f64 v[19:20], v[106:107], v[32:33]
	v_add_f64 v[17:18], v[108:109], v[132:133]
	v_add_f64 v[182:183], v[108:109], v[138:139]
	v_mul_f64 v[132:133], v[188:189], s[42:43]
	v_add_f64 v[166:167], v[108:109], v[142:143]
	v_add_f64 v[154:155], v[108:109], v[144:145]
	v_mul_f64 v[144:145], v[200:201], s[30:31]
	scratch_store_b64 off, v[5:6], off offset:48 ; 8-byte Folded Spill
	v_add_f64 v[5:6], v[108:109], v[128:129]
	v_mul_f64 v[128:129], v[186:187], s[42:43]
	scratch_store_b64 off, v[9:10], off offset:8 ; 8-byte Folded Spill
	v_add_f64 v[9:10], v[106:107], v[24:25]
	v_add_f64 v[25:26], v[108:109], v[136:137]
	;; [unrolled: 1-line block ×4, first 2 shown]
	v_add_f64 v[150:151], v[44:45], -v[96:97]
	v_add_f64 v[23:24], v[106:107], v[30:31]
	v_add_f64 v[31:32], v[106:107], v[34:35]
	;; [unrolled: 1-line block ×7, first 2 shown]
	v_mul_f64 v[140:141], v[198:199], s[30:31]
	scratch_store_b64 off, v[9:10], off offset:32 ; 8-byte Folded Spill
	v_add_f64 v[9:10], v[108:109], v[110:111]
	v_fma_f64 v[122:123], v[118:119], s[24:25], v[120:121]
	scratch_store_b64 off, v[9:10], off offset:40 ; 8-byte Folded Spill
	v_add_f64 v[9:10], v[108:109], v[112:113]
	v_mul_f64 v[108:109], v[150:151], s[44:45]
	s_clause 0x2
	scratch_store_b64 off, v[0:1], off offset:64
	scratch_store_b64 off, v[44:45], off offset:24
	;; [unrolled: 1-line block ×3, first 2 shown]
	v_fma_f64 v[1:2], v[106:107], s[26:27], v[108:109]
	s_delay_alu instid0(VALU_DEP_1) | instskip(SKIP_1) | instid1(VALU_DEP_2)
	v_add_f64 v[1:2], v[1:2], v[3:4]
	v_fma_f64 v[3:4], v[114:115], s[26:27], -v[116:117]
	v_add_f64 v[1:2], v[122:123], v[1:2]
	v_add_f64 v[122:123], v[39:40], v[92:93]
	s_delay_alu instid0(VALU_DEP_3) | instskip(NEXT) | instid1(VALU_DEP_2)
	v_add_f64 v[3:4], v[3:4], v[158:159]
	v_fma_f64 v[126:127], v[122:123], s[24:25], -v[124:125]
	s_delay_alu instid0(VALU_DEP_1) | instskip(SKIP_1) | instid1(VALU_DEP_1)
	v_add_f64 v[3:4], v[126:127], v[3:4]
	v_add_f64 v[126:127], v[46:47], v[86:87]
	v_fma_f64 v[130:131], v[126:127], s[22:23], v[128:129]
	s_delay_alu instid0(VALU_DEP_1) | instskip(SKIP_1) | instid1(VALU_DEP_1)
	v_add_f64 v[1:2], v[130:131], v[1:2]
	v_add_f64 v[130:131], v[48:49], v[88:89]
	v_fma_f64 v[138:139], v[130:131], s[22:23], -v[132:133]
	s_delay_alu instid0(VALU_DEP_1) | instskip(SKIP_1) | instid1(VALU_DEP_1)
	v_add_f64 v[3:4], v[138:139], v[3:4]
	v_add_f64 v[138:139], v[50:51], v[80:81]
	v_fma_f64 v[142:143], v[138:139], s[20:21], v[140:141]
	s_delay_alu instid0(VALU_DEP_1) | instskip(SKIP_1) | instid1(VALU_DEP_1)
	v_add_f64 v[1:2], v[142:143], v[1:2]
	;; [unrolled: 8-line block ×4, first 2 shown]
	v_add_f64 v[178:179], v[60:61], v[72:73]
	v_fma_f64 v[190:191], v[178:179], s[12:13], -v[180:181]
	s_delay_alu instid0(VALU_DEP_1) | instskip(SKIP_1) | instid1(VALU_DEP_1)
	v_add_f64 v[3:4], v[190:191], v[3:4]
	v_add_f64 v[190:191], v[62:63], v[66:67]
	v_fma_f64 v[194:195], v[190:191], s[0:1], v[192:193]
	s_delay_alu instid0(VALU_DEP_1) | instskip(SKIP_2) | instid1(VALU_DEP_2)
	v_add_f64 v[42:43], v[194:195], v[1:2]
	v_add_f64 v[194:195], v[64:65], v[68:69]
	v_mul_f64 v[0:1], v[239:240], s[36:37]
	v_fma_f64 v[202:203], v[194:195], s[0:1], -v[196:197]
	s_delay_alu instid0(VALU_DEP_1) | instskip(SKIP_1) | instid1(VALU_DEP_4)
	v_add_f64 v[44:45], v[202:203], v[3:4]
	v_mul_f64 v[202:203], v[150:151], s[42:43]
	v_fma_f64 v[2:3], v[190:191], s[12:13], -v[0:1]
	v_fma_f64 v[0:1], v[190:191], s[12:13], v[0:1]
	s_delay_alu instid0(VALU_DEP_3) | instskip(NEXT) | instid1(VALU_DEP_1)
	v_fma_f64 v[204:205], v[106:107], s[22:23], -v[202:203]
	v_add_f64 v[11:12], v[204:205], v[11:12]
	v_mul_f64 v[204:205], v[152:153], s[42:43]
	s_delay_alu instid0(VALU_DEP_1) | instskip(NEXT) | instid1(VALU_DEP_1)
	v_fma_f64 v[206:207], v[114:115], s[22:23], v[204:205]
	v_add_f64 v[9:10], v[206:207], v[9:10]
	v_mul_f64 v[206:207], v[170:171], s[34:35]
	s_delay_alu instid0(VALU_DEP_1) | instskip(NEXT) | instid1(VALU_DEP_1)
	v_fma_f64 v[208:209], v[118:119], s[14:15], -v[206:207]
	v_add_f64 v[11:12], v[208:209], v[11:12]
	v_mul_f64 v[208:209], v[172:173], s[34:35]
	s_delay_alu instid0(VALU_DEP_1) | instskip(NEXT) | instid1(VALU_DEP_1)
	v_fma_f64 v[210:211], v[122:123], s[14:15], v[208:209]
	v_add_f64 v[9:10], v[210:211], v[9:10]
	v_mul_f64 v[210:211], v[186:187], s[40:41]
	s_delay_alu instid0(VALU_DEP_1) | instskip(NEXT) | instid1(VALU_DEP_1)
	;; [unrolled: 8-line block ×6, first 2 shown]
	v_fma_f64 v[9:10], v[190:191], s[28:29], -v[226:227]
	v_add_f64 v[9:10], v[9:10], v[11:12]
	v_fma_f64 v[11:12], v[194:195], s[28:29], v[228:229]
	s_delay_alu instid0(VALU_DEP_1) | instskip(SKIP_1) | instid1(VALU_DEP_1)
	v_add_f64 v[11:12], v[11:12], v[243:244]
	v_mul_f64 v[243:244], v[150:151], s[34:35]
	v_fma_f64 v[245:246], v[106:107], s[14:15], -v[243:244]
	s_delay_alu instid0(VALU_DEP_1) | instskip(SKIP_1) | instid1(VALU_DEP_1)
	v_add_f64 v[15:16], v[245:246], v[15:16]
	v_mul_f64 v[245:246], v[152:153], s[34:35]
	v_fma_f64 v[247:248], v[114:115], s[14:15], v[245:246]
	s_delay_alu instid0(VALU_DEP_1) | instskip(SKIP_1) | instid1(VALU_DEP_1)
	v_add_f64 v[13:14], v[247:248], v[13:14]
	v_mul_f64 v[247:248], v[170:171], s[62:63]
	v_fma_f64 v[249:250], v[118:119], s[0:1], -v[247:248]
	s_delay_alu instid0(VALU_DEP_1) | instskip(SKIP_1) | instid1(VALU_DEP_1)
	v_add_f64 v[15:16], v[249:250], v[15:16]
	v_mul_f64 v[249:250], v[172:173], s[62:63]
	;; [unrolled: 8-line block ×3, first 2 shown]
	v_fma_f64 v[98:99], v[130:131], s[20:21], v[253:254]
	s_delay_alu instid0(VALU_DEP_1) | instskip(SKIP_1) | instid1(VALU_DEP_1)
	v_add_f64 v[13:14], v[98:99], v[13:14]
	v_mul_f64 v[98:99], v[198:199], s[50:51]
	v_fma_f64 v[100:101], v[138:139], s[26:27], -v[98:99]
	v_fma_f64 v[98:99], v[138:139], s[26:27], v[98:99]
	s_delay_alu instid0(VALU_DEP_2) | instskip(SKIP_1) | instid1(VALU_DEP_1)
	v_add_f64 v[15:16], v[100:101], v[15:16]
	v_mul_f64 v[100:101], v[200:201], s[50:51]
	v_fma_f64 v[102:103], v[142:143], s[26:27], v[100:101]
	s_delay_alu instid0(VALU_DEP_1) | instskip(SKIP_1) | instid1(VALU_DEP_1)
	v_add_f64 v[13:14], v[102:103], v[13:14]
	v_mul_f64 v[102:103], v[230:231], s[38:39]
	v_fma_f64 v[104:105], v[158:159], s[28:29], -v[102:103]
	s_delay_alu instid0(VALU_DEP_1) | instskip(SKIP_1) | instid1(VALU_DEP_1)
	v_add_f64 v[15:16], v[104:105], v[15:16]
	v_mul_f64 v[104:105], v[232:233], s[38:39]
	v_fma_f64 v[110:111], v[162:163], s[28:29], v[104:105]
	s_delay_alu instid0(VALU_DEP_1) | instskip(SKIP_1) | instid1(VALU_DEP_1)
	v_add_f64 v[13:14], v[110:111], v[13:14]
	v_mul_f64 v[110:111], v[234:235], s[42:43]
	v_fma_f64 v[112:113], v[174:175], s[22:23], -v[110:111]
	s_delay_alu instid0(VALU_DEP_1) | instskip(SKIP_1) | instid1(VALU_DEP_1)
	v_add_f64 v[15:16], v[112:113], v[15:16]
	v_mul_f64 v[112:113], v[236:237], s[42:43]
	v_fma_f64 v[134:135], v[178:179], s[22:23], v[112:113]
	s_delay_alu instid0(VALU_DEP_1) | instskip(NEXT) | instid1(VALU_DEP_4)
	v_add_f64 v[134:135], v[134:135], v[13:14]
	v_add_f64 v[13:14], v[2:3], v[15:16]
	v_mul_f64 v[2:3], v[241:242], s[36:37]
	s_delay_alu instid0(VALU_DEP_1) | instskip(SKIP_1) | instid1(VALU_DEP_2)
	v_fma_f64 v[15:16], v[194:195], s[12:13], v[2:3]
	v_fma_f64 v[2:3], v[194:195], s[12:13], -v[2:3]
	v_add_f64 v[15:16], v[15:16], v[134:135]
	v_fma_f64 v[134:135], v[106:107], s[14:15], v[243:244]
	v_mul_f64 v[243:244], v[230:231], s[36:37]
	s_delay_alu instid0(VALU_DEP_2) | instskip(SKIP_2) | instid1(VALU_DEP_2)
	v_add_f64 v[7:8], v[134:135], v[7:8]
	v_fma_f64 v[134:135], v[114:115], s[14:15], -v[245:246]
	v_mul_f64 v[245:246], v[232:233], s[36:37]
	v_add_f64 v[4:5], v[134:135], v[5:6]
	v_fma_f64 v[134:135], v[118:119], s[0:1], v[247:248]
	v_mul_f64 v[247:248], v[234:235], s[58:59]
	s_delay_alu instid0(VALU_DEP_2) | instskip(SKIP_2) | instid1(VALU_DEP_2)
	v_add_f64 v[6:7], v[134:135], v[7:8]
	v_fma_f64 v[134:135], v[122:123], s[0:1], -v[249:250]
	v_mul_f64 v[249:250], v[236:237], s[58:59]
	v_add_f64 v[4:5], v[134:135], v[4:5]
	v_fma_f64 v[134:135], v[126:127], s[20:21], v[251:252]
	v_mul_f64 v[251:252], v[239:240], s[50:51]
	s_delay_alu instid0(VALU_DEP_2) | instskip(SKIP_1) | instid1(VALU_DEP_2)
	v_add_f64 v[6:7], v[134:135], v[6:7]
	v_fma_f64 v[134:135], v[130:131], s[20:21], -v[253:254]
	v_add_f64 v[6:7], v[98:99], v[6:7]
	s_delay_alu instid0(VALU_DEP_2) | instskip(SKIP_3) | instid1(VALU_DEP_3)
	v_add_f64 v[4:5], v[134:135], v[4:5]
	v_fma_f64 v[98:99], v[142:143], s[26:27], -v[100:101]
	v_mul_f64 v[100:101], v[170:171], s[56:57]
	v_mul_f64 v[134:135], v[200:201], s[52:53]
	v_add_f64 v[4:5], v[98:99], v[4:5]
	v_fma_f64 v[98:99], v[158:159], s[28:29], v[102:103]
	v_mul_f64 v[102:103], v[172:173], s[56:57]
	s_delay_alu instid0(VALU_DEP_2) | instskip(SKIP_2) | instid1(VALU_DEP_2)
	v_add_f64 v[6:7], v[98:99], v[6:7]
	v_fma_f64 v[98:99], v[162:163], s[28:29], -v[104:105]
	v_mul_f64 v[104:105], v[186:187], s[48:49]
	v_add_f64 v[4:5], v[98:99], v[4:5]
	v_fma_f64 v[98:99], v[174:175], s[22:23], v[110:111]
	v_mul_f64 v[110:111], v[188:189], s[48:49]
	s_delay_alu instid0(VALU_DEP_2) | instskip(SKIP_2) | instid1(VALU_DEP_2)
	v_add_f64 v[6:7], v[98:99], v[6:7]
	v_fma_f64 v[98:99], v[178:179], s[22:23], -v[112:113]
	v_mul_f64 v[112:113], v[198:199], s[52:53]
	v_add_f64 v[98:99], v[98:99], v[4:5]
	s_delay_alu instid0(VALU_DEP_4) | instskip(SKIP_1) | instid1(VALU_DEP_3)
	v_add_f64 v[5:6], v[0:1], v[6:7]
	v_mul_f64 v[0:1], v[150:151], s[40:41]
	v_add_f64 v[7:8], v[2:3], v[98:99]
	v_mul_f64 v[98:99], v[152:153], s[40:41]
	s_delay_alu instid0(VALU_DEP_3) | instskip(SKIP_1) | instid1(VALU_DEP_2)
	v_fma_f64 v[2:3], v[106:107], s[0:1], -v[0:1]
	v_fma_f64 v[0:1], v[106:107], s[0:1], v[0:1]
	v_add_f64 v[2:3], v[2:3], v[23:24]
	s_delay_alu instid0(VALU_DEP_4) | instskip(NEXT) | instid1(VALU_DEP_3)
	v_fma_f64 v[23:24], v[114:115], s[0:1], v[98:99]
	v_add_f64 v[0:1], v[0:1], v[19:20]
	v_fma_f64 v[19:20], v[114:115], s[0:1], -v[98:99]
	v_mul_f64 v[98:99], v[152:153], s[60:61]
	s_delay_alu instid0(VALU_DEP_4) | instskip(SKIP_1) | instid1(VALU_DEP_4)
	v_add_f64 v[21:22], v[23:24], v[21:22]
	v_fma_f64 v[23:24], v[118:119], s[20:21], -v[100:101]
	v_add_f64 v[17:18], v[19:20], v[17:18]
	v_fma_f64 v[19:20], v[118:119], s[20:21], v[100:101]
	v_mul_f64 v[100:101], v[170:171], s[50:51]
	s_delay_alu instid0(VALU_DEP_4) | instskip(SKIP_1) | instid1(VALU_DEP_4)
	v_add_f64 v[2:3], v[23:24], v[2:3]
	v_fma_f64 v[23:24], v[122:123], s[20:21], v[102:103]
	v_add_f64 v[0:1], v[19:20], v[0:1]
	v_fma_f64 v[19:20], v[122:123], s[20:21], -v[102:103]
	v_mul_f64 v[102:103], v[172:173], s[50:51]
	s_delay_alu instid0(VALU_DEP_4) | instskip(SKIP_1) | instid1(VALU_DEP_4)
	v_add_f64 v[21:22], v[23:24], v[21:22]
	v_fma_f64 v[23:24], v[126:127], s[28:29], -v[104:105]
	v_add_f64 v[17:18], v[19:20], v[17:18]
	v_fma_f64 v[19:20], v[126:127], s[28:29], v[104:105]
	v_mul_f64 v[104:105], v[186:187], s[52:53]
	s_delay_alu instid0(VALU_DEP_4) | instskip(SKIP_1) | instid1(VALU_DEP_4)
	v_add_f64 v[2:3], v[23:24], v[2:3]
	;; [unrolled: 12-line block ×6, first 2 shown]
	v_mul_f64 v[2:3], v[241:242], s[50:51]
	v_add_f64 v[17:18], v[17:18], v[0:1]
	v_mul_f64 v[0:1], v[150:151], s[60:61]
	s_delay_alu instid0(VALU_DEP_3) | instskip(SKIP_1) | instid1(VALU_DEP_2)
	v_fma_f64 v[253:254], v[194:195], s[26:27], v[2:3]
	v_fma_f64 v[2:3], v[194:195], s[26:27], -v[2:3]
	v_add_f64 v[23:24], v[253:254], v[23:24]
	s_delay_alu instid0(VALU_DEP_2) | instskip(SKIP_2) | instid1(VALU_DEP_2)
	v_add_f64 v[19:20], v[2:3], v[19:20]
	v_fma_f64 v[2:3], v[106:107], s[12:13], -v[0:1]
	v_fma_f64 v[0:1], v[106:107], s[12:13], v[0:1]
	v_add_f64 v[2:3], v[2:3], v[31:32]
	v_fma_f64 v[31:32], v[114:115], s[12:13], v[98:99]
	s_delay_alu instid0(VALU_DEP_3) | instskip(SKIP_2) | instid1(VALU_DEP_4)
	v_add_f64 v[0:1], v[0:1], v[27:28]
	v_fma_f64 v[27:28], v[114:115], s[12:13], -v[98:99]
	v_mul_f64 v[98:99], v[152:153], s[56:57]
	v_add_f64 v[29:30], v[31:32], v[29:30]
	v_fma_f64 v[31:32], v[118:119], s[26:27], -v[100:101]
	s_delay_alu instid0(VALU_DEP_4) | instskip(SKIP_2) | instid1(VALU_DEP_4)
	v_add_f64 v[25:26], v[27:28], v[25:26]
	v_fma_f64 v[27:28], v[118:119], s[26:27], v[100:101]
	v_fma_f64 v[100:101], v[114:115], s[20:21], v[98:99]
	v_add_f64 v[2:3], v[31:32], v[2:3]
	v_fma_f64 v[31:32], v[122:123], s[26:27], v[102:103]
	s_delay_alu instid0(VALU_DEP_4)
	v_add_f64 v[0:1], v[27:28], v[0:1]
	v_fma_f64 v[27:28], v[122:123], s[26:27], -v[102:103]
	v_mul_f64 v[102:103], v[170:171], s[38:39]
	v_add_f64 v[100:101], v[100:101], v[182:183]
	v_add_f64 v[29:30], v[31:32], v[29:30]
	v_fma_f64 v[31:32], v[126:127], s[24:25], -v[104:105]
	v_add_f64 v[25:26], v[27:28], v[25:26]
	v_fma_f64 v[27:28], v[126:127], s[24:25], v[104:105]
	v_fma_f64 v[104:105], v[118:119], s[28:29], -v[102:103]
	s_delay_alu instid0(VALU_DEP_4) | instskip(SKIP_1) | instid1(VALU_DEP_4)
	v_add_f64 v[2:3], v[31:32], v[2:3]
	v_fma_f64 v[31:32], v[130:131], s[24:25], v[110:111]
	v_add_f64 v[0:1], v[27:28], v[0:1]
	v_fma_f64 v[27:28], v[130:131], s[24:25], -v[110:111]
	s_delay_alu instid0(VALU_DEP_3) | instskip(SKIP_1) | instid1(VALU_DEP_3)
	v_add_f64 v[29:30], v[31:32], v[29:30]
	v_fma_f64 v[31:32], v[138:139], s[0:1], -v[112:113]
	v_add_f64 v[25:26], v[27:28], v[25:26]
	v_fma_f64 v[27:28], v[138:139], s[0:1], v[112:113]
	s_delay_alu instid0(VALU_DEP_3) | instskip(SKIP_1) | instid1(VALU_DEP_3)
	v_add_f64 v[2:3], v[31:32], v[2:3]
	v_fma_f64 v[31:32], v[142:143], s[0:1], v[134:135]
	v_add_f64 v[0:1], v[27:28], v[0:1]
	v_fma_f64 v[27:28], v[142:143], s[0:1], -v[134:135]
	s_delay_alu instid0(VALU_DEP_3) | instskip(SKIP_1) | instid1(VALU_DEP_3)
	v_add_f64 v[29:30], v[31:32], v[29:30]
	v_fma_f64 v[31:32], v[158:159], s[22:23], -v[243:244]
	v_add_f64 v[25:26], v[27:28], v[25:26]
	v_fma_f64 v[27:28], v[158:159], s[22:23], v[243:244]
	v_mul_f64 v[243:244], v[200:201], s[54:55]
	s_delay_alu instid0(VALU_DEP_4) | instskip(SKIP_1) | instid1(VALU_DEP_4)
	v_add_f64 v[2:3], v[31:32], v[2:3]
	v_fma_f64 v[31:32], v[162:163], s[22:23], v[245:246]
	v_add_f64 v[0:1], v[27:28], v[0:1]
	v_fma_f64 v[27:28], v[162:163], s[22:23], -v[245:246]
	v_mul_f64 v[245:246], v[230:231], s[44:45]
	s_delay_alu instid0(VALU_DEP_4) | instskip(SKIP_1) | instid1(VALU_DEP_4)
	v_add_f64 v[29:30], v[31:32], v[29:30]
	v_fma_f64 v[31:32], v[174:175], s[28:29], -v[247:248]
	v_add_f64 v[25:26], v[27:28], v[25:26]
	v_fma_f64 v[27:28], v[174:175], s[28:29], v[247:248]
	v_mul_f64 v[247:248], v[232:233], s[44:45]
	s_delay_alu instid0(VALU_DEP_4) | instskip(SKIP_1) | instid1(VALU_DEP_4)
	v_add_f64 v[2:3], v[31:32], v[2:3]
	v_fma_f64 v[31:32], v[178:179], s[28:29], v[249:250]
	v_add_f64 v[0:1], v[27:28], v[0:1]
	v_fma_f64 v[27:28], v[178:179], s[28:29], -v[249:250]
	v_mul_f64 v[249:250], v[234:235], s[40:41]
	s_delay_alu instid0(VALU_DEP_4) | instskip(SKIP_1) | instid1(VALU_DEP_4)
	v_add_f64 v[31:32], v[31:32], v[29:30]
	v_fma_f64 v[29:30], v[190:191], s[14:15], -v[251:252]
	v_add_f64 v[27:28], v[27:28], v[25:26]
	v_fma_f64 v[25:26], v[190:191], s[14:15], v[251:252]
	v_mul_f64 v[251:252], v[236:237], s[40:41]
	s_delay_alu instid0(VALU_DEP_4) | instskip(SKIP_1) | instid1(VALU_DEP_4)
	v_add_f64 v[29:30], v[29:30], v[2:3]
	v_mul_f64 v[2:3], v[241:242], s[34:35]
	v_add_f64 v[25:26], v[25:26], v[0:1]
	v_mul_f64 v[0:1], v[150:151], s[56:57]
	s_delay_alu instid0(VALU_DEP_3) | instskip(SKIP_1) | instid1(VALU_DEP_2)
	v_fma_f64 v[253:254], v[194:195], s[14:15], v[2:3]
	v_fma_f64 v[2:3], v[194:195], s[14:15], -v[2:3]
	v_add_f64 v[31:32], v[253:254], v[31:32]
	s_delay_alu instid0(VALU_DEP_2) | instskip(SKIP_3) | instid1(VALU_DEP_3)
	v_add_f64 v[27:28], v[2:3], v[27:28]
	v_fma_f64 v[2:3], v[106:107], s[20:21], -v[0:1]
	v_fma_f64 v[0:1], v[106:107], s[20:21], v[0:1]
	v_mul_f64 v[253:254], v[239:240], s[46:47]
	v_add_f64 v[2:3], v[2:3], v[184:185]
	s_delay_alu instid0(VALU_DEP_3) | instskip(SKIP_2) | instid1(VALU_DEP_4)
	v_add_f64 v[0:1], v[0:1], v[35:36]
	v_fma_f64 v[35:36], v[114:115], s[20:21], -v[98:99]
	v_mul_f64 v[98:99], v[152:153], s[46:47]
	v_add_f64 v[2:3], v[104:105], v[2:3]
	v_mul_f64 v[104:105], v[172:173], s[38:39]
	s_delay_alu instid0(VALU_DEP_4) | instskip(SKIP_2) | instid1(VALU_DEP_4)
	v_add_f64 v[33:34], v[35:36], v[33:34]
	v_fma_f64 v[35:36], v[118:119], s[28:29], v[102:103]
	v_mul_f64 v[102:103], v[170:171], s[42:43]
	v_fma_f64 v[110:111], v[122:123], s[28:29], v[104:105]
	s_delay_alu instid0(VALU_DEP_3) | instskip(SKIP_1) | instid1(VALU_DEP_4)
	v_add_f64 v[0:1], v[35:36], v[0:1]
	v_fma_f64 v[35:36], v[122:123], s[28:29], -v[104:105]
	v_fma_f64 v[104:105], v[118:119], s[22:23], -v[102:103]
	s_delay_alu instid0(VALU_DEP_4) | instskip(SKIP_1) | instid1(VALU_DEP_4)
	v_add_f64 v[100:101], v[110:111], v[100:101]
	v_mul_f64 v[110:111], v[186:187], s[36:37]
	v_add_f64 v[33:34], v[35:36], v[33:34]
	s_delay_alu instid0(VALU_DEP_2) | instskip(SKIP_1) | instid1(VALU_DEP_2)
	v_fma_f64 v[112:113], v[126:127], s[12:13], -v[110:111]
	v_fma_f64 v[35:36], v[126:127], s[12:13], v[110:111]
	v_add_f64 v[2:3], v[112:113], v[2:3]
	v_mul_f64 v[112:113], v[188:189], s[36:37]
	s_delay_alu instid0(VALU_DEP_3) | instskip(NEXT) | instid1(VALU_DEP_2)
	v_add_f64 v[0:1], v[35:36], v[0:1]
	v_fma_f64 v[134:135], v[130:131], s[12:13], v[112:113]
	v_fma_f64 v[35:36], v[130:131], s[12:13], -v[112:113]
	s_delay_alu instid0(VALU_DEP_2) | instskip(SKIP_1) | instid1(VALU_DEP_3)
	v_add_f64 v[100:101], v[134:135], v[100:101]
	v_mul_f64 v[134:135], v[198:199], s[54:55]
	v_add_f64 v[33:34], v[35:36], v[33:34]
	s_delay_alu instid0(VALU_DEP_2) | instskip(SKIP_1) | instid1(VALU_DEP_2)
	v_fma_f64 v[182:183], v[138:139], s[22:23], -v[134:135]
	v_fma_f64 v[35:36], v[138:139], s[22:23], v[134:135]
	v_add_f64 v[2:3], v[182:183], v[2:3]
	v_fma_f64 v[182:183], v[142:143], s[22:23], v[243:244]
	s_delay_alu instid0(VALU_DEP_3) | instskip(SKIP_2) | instid1(VALU_DEP_4)
	v_add_f64 v[0:1], v[35:36], v[0:1]
	v_fma_f64 v[35:36], v[142:143], s[22:23], -v[243:244]
	v_mul_f64 v[243:244], v[200:201], s[38:39]
	v_add_f64 v[100:101], v[182:183], v[100:101]
	v_fma_f64 v[182:183], v[158:159], s[26:27], -v[245:246]
	s_delay_alu instid0(VALU_DEP_4) | instskip(SKIP_2) | instid1(VALU_DEP_4)
	v_add_f64 v[33:34], v[35:36], v[33:34]
	v_fma_f64 v[35:36], v[158:159], s[26:27], v[245:246]
	v_mul_f64 v[245:246], v[230:231], s[40:41]
	v_add_f64 v[2:3], v[182:183], v[2:3]
	v_fma_f64 v[182:183], v[162:163], s[26:27], v[247:248]
	s_delay_alu instid0(VALU_DEP_4) | instskip(SKIP_2) | instid1(VALU_DEP_4)
	v_add_f64 v[0:1], v[35:36], v[0:1]
	v_fma_f64 v[35:36], v[162:163], s[26:27], -v[247:248]
	v_mul_f64 v[247:248], v[232:233], s[40:41]
	v_add_f64 v[100:101], v[182:183], v[100:101]
	v_fma_f64 v[182:183], v[174:175], s[0:1], -v[249:250]
	s_delay_alu instid0(VALU_DEP_4) | instskip(SKIP_2) | instid1(VALU_DEP_4)
	v_add_f64 v[33:34], v[35:36], v[33:34]
	v_fma_f64 v[35:36], v[174:175], s[0:1], v[249:250]
	v_mul_f64 v[249:250], v[234:235], s[50:51]
	v_add_f64 v[2:3], v[182:183], v[2:3]
	v_fma_f64 v[182:183], v[178:179], s[0:1], v[251:252]
	s_delay_alu instid0(VALU_DEP_4) | instskip(SKIP_2) | instid1(VALU_DEP_4)
	v_add_f64 v[0:1], v[35:36], v[0:1]
	v_fma_f64 v[35:36], v[178:179], s[0:1], -v[251:252]
	v_mul_f64 v[251:252], v[236:237], s[50:51]
	v_add_f64 v[100:101], v[182:183], v[100:101]
	v_fma_f64 v[182:183], v[190:191], s[24:25], -v[253:254]
	s_delay_alu instid0(VALU_DEP_4) | instskip(SKIP_2) | instid1(VALU_DEP_4)
	v_add_f64 v[35:36], v[35:36], v[33:34]
	v_fma_f64 v[33:34], v[190:191], s[24:25], v[253:254]
	v_mul_f64 v[253:254], v[239:240], s[30:31]
	v_add_f64 v[182:183], v[182:183], v[2:3]
	v_mul_f64 v[2:3], v[241:242], s[46:47]
	s_delay_alu instid0(VALU_DEP_4) | instskip(SKIP_1) | instid1(VALU_DEP_3)
	v_add_f64 v[33:34], v[33:34], v[0:1]
	v_mul_f64 v[0:1], v[150:151], s[46:47]
	v_fma_f64 v[184:185], v[194:195], s[24:25], v[2:3]
	v_fma_f64 v[2:3], v[194:195], s[24:25], -v[2:3]
	s_delay_alu instid0(VALU_DEP_2) | instskip(NEXT) | instid1(VALU_DEP_2)
	v_add_f64 v[184:185], v[184:185], v[100:101]
	v_add_f64 v[35:36], v[2:3], v[35:36]
	v_fma_f64 v[2:3], v[106:107], s[24:25], -v[0:1]
	v_fma_f64 v[100:101], v[114:115], s[24:25], v[98:99]
	v_fma_f64 v[0:1], v[106:107], s[24:25], v[0:1]
	v_fma_f64 v[98:99], v[114:115], s[24:25], -v[98:99]
	s_delay_alu instid0(VALU_DEP_4) | instskip(NEXT) | instid1(VALU_DEP_4)
	v_add_f64 v[2:3], v[2:3], v[168:169]
	v_add_f64 v[100:101], v[100:101], v[166:167]
	s_delay_alu instid0(VALU_DEP_4) | instskip(NEXT) | instid1(VALU_DEP_4)
	v_add_f64 v[0:1], v[0:1], v[156:157]
	v_add_f64 v[98:99], v[98:99], v[154:155]
	s_delay_alu instid0(VALU_DEP_4) | instskip(SKIP_1) | instid1(VALU_DEP_1)
	v_add_f64 v[2:3], v[104:105], v[2:3]
	v_mul_f64 v[104:105], v[172:173], s[42:43]
	v_fma_f64 v[110:111], v[122:123], s[22:23], v[104:105]
	s_delay_alu instid0(VALU_DEP_1) | instskip(SKIP_1) | instid1(VALU_DEP_1)
	v_add_f64 v[100:101], v[110:111], v[100:101]
	v_mul_f64 v[110:111], v[186:187], s[58:59]
	v_fma_f64 v[112:113], v[126:127], s[14:15], -v[110:111]
	s_delay_alu instid0(VALU_DEP_1) | instskip(SKIP_1) | instid1(VALU_DEP_1)
	v_add_f64 v[2:3], v[112:113], v[2:3]
	v_mul_f64 v[112:113], v[188:189], s[58:59]
	v_fma_f64 v[134:135], v[130:131], s[14:15], v[112:113]
	s_delay_alu instid0(VALU_DEP_1) | instskip(SKIP_1) | instid1(VALU_DEP_1)
	v_add_f64 v[100:101], v[134:135], v[100:101]
	v_mul_f64 v[134:135], v[198:199], s[38:39]
	v_fma_f64 v[166:167], v[138:139], s[28:29], -v[134:135]
	s_delay_alu instid0(VALU_DEP_1) | instskip(SKIP_1) | instid1(VALU_DEP_1)
	v_add_f64 v[2:3], v[166:167], v[2:3]
	v_fma_f64 v[166:167], v[142:143], s[28:29], v[243:244]
	v_add_f64 v[100:101], v[166:167], v[100:101]
	v_fma_f64 v[166:167], v[158:159], s[0:1], -v[245:246]
	s_delay_alu instid0(VALU_DEP_1) | instskip(SKIP_1) | instid1(VALU_DEP_1)
	v_add_f64 v[2:3], v[166:167], v[2:3]
	v_fma_f64 v[166:167], v[162:163], s[0:1], v[247:248]
	v_add_f64 v[100:101], v[166:167], v[100:101]
	;; [unrolled: 5-line block ×3, first 2 shown]
	v_fma_f64 v[166:167], v[190:191], s[20:21], -v[253:254]
	s_delay_alu instid0(VALU_DEP_1) | instskip(SKIP_1) | instid1(VALU_DEP_1)
	v_add_f64 v[166:167], v[166:167], v[2:3]
	v_mul_f64 v[2:3], v[241:242], s[30:31]
	v_fma_f64 v[168:169], v[194:195], s[20:21], v[2:3]
	v_fma_f64 v[2:3], v[194:195], s[20:21], -v[2:3]
	s_delay_alu instid0(VALU_DEP_2) | instskip(SKIP_3) | instid1(VALU_DEP_3)
	v_add_f64 v[168:169], v[168:169], v[100:101]
	v_fma_f64 v[100:101], v[118:119], s[22:23], v[102:103]
	v_mul_f64 v[102:103], v[170:171], s[36:37]
	v_mul_f64 v[170:171], v[232:233], s[46:47]
	v_add_f64 v[0:1], v[100:101], v[0:1]
	v_fma_f64 v[100:101], v[122:123], s[22:23], -v[104:105]
	s_delay_alu instid0(VALU_DEP_4) | instskip(NEXT) | instid1(VALU_DEP_2)
	v_fma_f64 v[104:105], v[118:119], s[12:13], -v[102:103]
	v_add_f64 v[98:99], v[100:101], v[98:99]
	v_fma_f64 v[100:101], v[126:127], s[14:15], v[110:111]
	s_delay_alu instid0(VALU_DEP_1) | instskip(SKIP_1) | instid1(VALU_DEP_1)
	v_add_f64 v[0:1], v[100:101], v[0:1]
	v_fma_f64 v[100:101], v[130:131], s[14:15], -v[112:113]
	v_add_f64 v[98:99], v[100:101], v[98:99]
	v_fma_f64 v[100:101], v[138:139], s[28:29], v[134:135]
	s_delay_alu instid0(VALU_DEP_1) | instskip(SKIP_1) | instid1(VALU_DEP_1)
	v_add_f64 v[0:1], v[100:101], v[0:1]
	;; [unrolled: 5-line block ×4, first 2 shown]
	v_fma_f64 v[100:101], v[178:179], s[26:27], -v[251:252]
	v_add_f64 v[98:99], v[100:101], v[98:99]
	v_fma_f64 v[100:101], v[190:191], s[20:21], v[253:254]
	s_delay_alu instid0(VALU_DEP_2) | instskip(NEXT) | instid1(VALU_DEP_2)
	v_add_f64 v[156:157], v[2:3], v[98:99]
	v_add_f64 v[154:155], v[100:101], v[0:1]
	v_mul_f64 v[0:1], v[150:151], s[48:49]
	v_mul_f64 v[98:99], v[152:153], s[48:49]
	;; [unrolled: 1-line block ×4, first 2 shown]
	s_delay_alu instid0(VALU_DEP_4) | instskip(NEXT) | instid1(VALU_DEP_4)
	v_fma_f64 v[2:3], v[106:107], s[28:29], -v[0:1]
	v_fma_f64 v[100:101], v[114:115], s[28:29], v[98:99]
	v_fma_f64 v[0:1], v[106:107], s[28:29], v[0:1]
	s_delay_alu instid0(VALU_DEP_3) | instskip(NEXT) | instid1(VALU_DEP_3)
	v_add_f64 v[2:3], v[2:3], v[148:149]
	v_add_f64 v[100:101], v[100:101], v[146:147]
	s_delay_alu instid0(VALU_DEP_3) | instskip(NEXT) | instid1(VALU_DEP_3)
	v_add_f64 v[0:1], v[0:1], v[136:137]
	v_add_f64 v[2:3], v[104:105], v[2:3]
	v_mul_f64 v[104:105], v[172:173], s[36:37]
	v_mul_f64 v[172:173], v[234:235], s[30:31]
	s_delay_alu instid0(VALU_DEP_2) | instskip(NEXT) | instid1(VALU_DEP_1)
	v_fma_f64 v[110:111], v[122:123], s[12:13], v[104:105]
	v_add_f64 v[100:101], v[110:111], v[100:101]
	v_mul_f64 v[110:111], v[186:187], s[50:51]
	v_mul_f64 v[186:187], v[236:237], s[30:31]
	s_delay_alu instid0(VALU_DEP_2) | instskip(NEXT) | instid1(VALU_DEP_1)
	v_fma_f64 v[112:113], v[126:127], s[26:27], -v[110:111]
	v_add_f64 v[2:3], v[112:113], v[2:3]
	v_mul_f64 v[112:113], v[188:189], s[50:51]
	v_mul_f64 v[188:189], v[239:240], s[54:55]
	s_delay_alu instid0(VALU_DEP_2) | instskip(NEXT) | instid1(VALU_DEP_1)
	v_fma_f64 v[134:135], v[130:131], s[26:27], v[112:113]
	v_add_f64 v[100:101], v[134:135], v[100:101]
	v_mul_f64 v[134:135], v[198:199], s[34:35]
	v_mul_f64 v[198:199], v[241:242], s[54:55]
	s_delay_alu instid0(VALU_DEP_2) | instskip(NEXT) | instid1(VALU_DEP_1)
	v_fma_f64 v[146:147], v[138:139], s[14:15], -v[134:135]
	v_add_f64 v[2:3], v[146:147], v[2:3]
	v_fma_f64 v[146:147], v[142:143], s[14:15], v[150:151]
	s_delay_alu instid0(VALU_DEP_1) | instskip(SKIP_1) | instid1(VALU_DEP_1)
	v_add_f64 v[100:101], v[146:147], v[100:101]
	v_fma_f64 v[146:147], v[158:159], s[24:25], -v[152:153]
	v_add_f64 v[2:3], v[146:147], v[2:3]
	v_fma_f64 v[146:147], v[162:163], s[24:25], v[170:171]
	s_delay_alu instid0(VALU_DEP_1) | instskip(SKIP_1) | instid1(VALU_DEP_1)
	v_add_f64 v[100:101], v[146:147], v[100:101]
	;; [unrolled: 5-line block ×3, first 2 shown]
	v_fma_f64 v[146:147], v[190:191], s[22:23], -v[188:189]
	v_add_f64 v[146:147], v[146:147], v[2:3]
	v_fma_f64 v[2:3], v[194:195], s[22:23], v[198:199]
	s_delay_alu instid0(VALU_DEP_1)
	v_add_f64 v[148:149], v[2:3], v[100:101]
	v_fma_f64 v[2:3], v[114:115], s[28:29], -v[98:99]
	scratch_load_b64 v[98:99], off, off offset:64 ; 8-byte Folded Reload
	v_fma_f64 v[100:101], v[194:195], s[22:23], -v[198:199]
	s_waitcnt vmcnt(0)
	v_add_f64 v[2:3], v[2:3], v[98:99]
	v_fma_f64 v[98:99], v[118:119], s[12:13], v[102:103]
	s_delay_alu instid0(VALU_DEP_1) | instskip(SKIP_1) | instid1(VALU_DEP_1)
	v_add_f64 v[0:1], v[98:99], v[0:1]
	v_fma_f64 v[98:99], v[122:123], s[12:13], -v[104:105]
	v_add_f64 v[2:3], v[98:99], v[2:3]
	v_fma_f64 v[98:99], v[126:127], s[26:27], v[110:111]
	s_delay_alu instid0(VALU_DEP_1) | instskip(SKIP_1) | instid1(VALU_DEP_1)
	v_add_f64 v[0:1], v[98:99], v[0:1]
	v_fma_f64 v[98:99], v[130:131], s[26:27], -v[112:113]
	;; [unrolled: 5-line block ×5, first 2 shown]
	v_add_f64 v[2:3], v[98:99], v[2:3]
	v_fma_f64 v[98:99], v[190:191], s[22:23], v[188:189]
	s_delay_alu instid0(VALU_DEP_2)
	v_add_f64 v[136:137], v[100:101], v[2:3]
	scratch_load_b64 v[2:3], off, off offset:56 ; 8-byte Folded Reload
	v_add_f64 v[134:135], v[98:99], v[0:1]
	scratch_load_b64 v[98:99], off, off offset:48 ; 8-byte Folded Reload
	v_fma_f64 v[0:1], v[106:107], s[22:23], v[202:203]
	v_fma_f64 v[100:101], v[194:195], s[28:29], -v[228:229]
	s_waitcnt vmcnt(1)
	s_delay_alu instid0(VALU_DEP_2) | instskip(SKIP_2) | instid1(VALU_DEP_1)
	v_add_f64 v[0:1], v[0:1], v[2:3]
	v_fma_f64 v[2:3], v[114:115], s[22:23], -v[204:205]
	s_waitcnt vmcnt(0)
	v_add_f64 v[2:3], v[2:3], v[98:99]
	v_fma_f64 v[98:99], v[118:119], s[14:15], v[206:207]
	s_delay_alu instid0(VALU_DEP_1) | instskip(SKIP_1) | instid1(VALU_DEP_1)
	v_add_f64 v[0:1], v[98:99], v[0:1]
	v_fma_f64 v[98:99], v[122:123], s[14:15], -v[208:209]
	v_add_f64 v[2:3], v[98:99], v[2:3]
	v_fma_f64 v[98:99], v[126:127], s[0:1], v[210:211]
	s_delay_alu instid0(VALU_DEP_1) | instskip(SKIP_1) | instid1(VALU_DEP_1)
	v_add_f64 v[0:1], v[98:99], v[0:1]
	v_fma_f64 v[98:99], v[130:131], s[0:1], -v[212:213]
	;; [unrolled: 5-line block ×5, first 2 shown]
	v_add_f64 v[2:3], v[98:99], v[2:3]
	v_fma_f64 v[98:99], v[190:191], s[28:29], v[226:227]
	s_delay_alu instid0(VALU_DEP_2) | instskip(NEXT) | instid1(VALU_DEP_2)
	v_add_f64 v[112:113], v[100:101], v[2:3]
	v_add_f64 v[110:111], v[98:99], v[0:1]
	scratch_load_b64 v[98:99], off, off offset:32 ; 8-byte Folded Reload
	v_fma_f64 v[0:1], v[106:107], s[26:27], -v[108:109]
	v_fma_f64 v[2:3], v[114:115], s[26:27], v[116:117]
	v_fma_f64 v[100:101], v[122:123], s[24:25], v[124:125]
	s_waitcnt vmcnt(0)
	s_delay_alu instid0(VALU_DEP_3)
	v_add_f64 v[0:1], v[0:1], v[98:99]
	scratch_load_b64 v[98:99], off, off offset:40 ; 8-byte Folded Reload
	s_waitcnt vmcnt(0)
	s_waitcnt_vscnt null, 0x0
	s_barrier
	buffer_gl0_inv
	ds_store_b128 v238, v[9:12] offset:544
	ds_store_b128 v238, v[13:16] offset:816
	;; [unrolled: 1-line block ×8, first 2 shown]
	v_add_f64 v[2:3], v[2:3], v[98:99]
	v_fma_f64 v[98:99], v[118:119], s[24:25], -v[120:121]
	s_delay_alu instid0(VALU_DEP_2) | instskip(NEXT) | instid1(VALU_DEP_2)
	v_add_f64 v[2:3], v[100:101], v[2:3]
	v_add_f64 v[0:1], v[98:99], v[0:1]
	v_fma_f64 v[98:99], v[126:127], s[22:23], -v[128:129]
	v_fma_f64 v[100:101], v[130:131], s[22:23], v[132:133]
	s_delay_alu instid0(VALU_DEP_2) | instskip(NEXT) | instid1(VALU_DEP_2)
	v_add_f64 v[0:1], v[98:99], v[0:1]
	v_add_f64 v[2:3], v[100:101], v[2:3]
	v_fma_f64 v[98:99], v[138:139], s[20:21], -v[140:141]
	v_fma_f64 v[100:101], v[142:143], s[20:21], v[144:145]
	s_delay_alu instid0(VALU_DEP_2) | instskip(NEXT) | instid1(VALU_DEP_2)
	v_add_f64 v[0:1], v[98:99], v[0:1]
	v_add_f64 v[2:3], v[100:101], v[2:3]
	v_fma_f64 v[98:99], v[158:159], s[14:15], -v[160:161]
	v_fma_f64 v[100:101], v[162:163], s[14:15], v[164:165]
	s_delay_alu instid0(VALU_DEP_2) | instskip(NEXT) | instid1(VALU_DEP_2)
	v_add_f64 v[0:1], v[98:99], v[0:1]
	v_add_f64 v[2:3], v[100:101], v[2:3]
	v_fma_f64 v[98:99], v[174:175], s[12:13], -v[176:177]
	v_fma_f64 v[100:101], v[178:179], s[12:13], v[180:181]
	s_delay_alu instid0(VALU_DEP_2) | instskip(NEXT) | instid1(VALU_DEP_2)
	v_add_f64 v[0:1], v[98:99], v[0:1]
	v_add_f64 v[2:3], v[100:101], v[2:3]
	v_fma_f64 v[98:99], v[190:191], s[0:1], -v[192:193]
	v_fma_f64 v[100:101], v[194:195], s[0:1], v[196:197]
	s_lshl_b64 s[0:1], s[10:11], 4
	s_delay_alu instid0(SALU_CYCLE_1) | instskip(SKIP_2) | instid1(SALU_CYCLE_1)
	s_add_u32 s2, s2, s0
	s_addc_u32 s3, s3, s1
	s_lshl_b64 s[0:1], s[6:7], 4
	s_add_u32 s2, s2, s0
	s_addc_u32 s3, s3, s1
	s_lshl_b64 s[0:1], s[8:9], 4
	s_delay_alu instid0(SALU_CYCLE_1) | instskip(SKIP_2) | instid1(VALU_DEP_2)
	s_add_u32 s2, s2, s0
	s_addc_u32 s1, s3, s1
	s_mul_i32 s0, s18, 17
	v_add_f64 v[102:103], v[98:99], v[0:1]
	s_delay_alu instid0(VALU_DEP_2)
	v_add_f64 v[104:105], v[100:101], v[2:3]
	s_clause 0x1
	scratch_load_b64 v[0:1], off, off
	scratch_load_b64 v[2:3], off, off offset:16
	s_waitcnt vmcnt(0)
	v_add_f64 v[0:1], v[0:1], v[2:3]
	s_clause 0x1
	scratch_load_b64 v[2:3], off, off offset:8
	scratch_load_b64 v[9:10], off, off offset:24
	ds_store_b128 v238, v[154:157] offset:2720
	v_add_f64 v[0:1], v[0:1], v[37:38]
	s_delay_alu instid0(VALU_DEP_1) | instskip(NEXT) | instid1(VALU_DEP_1)
	v_add_f64 v[0:1], v[0:1], v[46:47]
	v_add_f64 v[0:1], v[0:1], v[50:51]
	s_delay_alu instid0(VALU_DEP_1) | instskip(NEXT) | instid1(VALU_DEP_1)
	v_add_f64 v[0:1], v[0:1], v[54:55]
	;; [unrolled: 3-line block ×3, first 2 shown]
	v_add_f64 v[0:1], v[0:1], v[66:67]
	s_delay_alu instid0(VALU_DEP_1) | instskip(SKIP_2) | instid1(VALU_DEP_2)
	v_add_f64 v[0:1], v[0:1], v[70:71]
	s_waitcnt vmcnt(0)
	v_add_f64 v[2:3], v[2:3], v[9:10]
	v_add_f64 v[0:1], v[0:1], v[74:75]
	s_delay_alu instid0(VALU_DEP_2) | instskip(NEXT) | instid1(VALU_DEP_2)
	v_add_f64 v[2:3], v[2:3], v[39:40]
	v_add_f64 v[0:1], v[0:1], v[80:81]
	s_delay_alu instid0(VALU_DEP_2) | instskip(NEXT) | instid1(VALU_DEP_2)
	;; [unrolled: 3-line block ×5, first 2 shown]
	v_add_f64 v[2:3], v[2:3], v[60:61]
	v_add_f64 v[9:10], v[0:1], v[84:85]
	v_mul_u32_u24_e32 v0, 0x2493, v255
	s_delay_alu instid0(VALU_DEP_1) | instskip(NEXT) | instid1(VALU_DEP_1)
	v_lshrrev_b32_e32 v4, 16, v0
	v_mul_lo_u16 v0, v4, 7
	v_mul_lo_u32 v40, s18, v4
	s_delay_alu instid0(VALU_DEP_2) | instskip(SKIP_1) | instid1(VALU_DEP_2)
	v_sub_nc_u16 v13, v255, v0
	v_add_f64 v[2:3], v[2:3], v[64:65]
	v_and_b32_e32 v14, 0xffff, v13
	s_delay_alu instid0(VALU_DEP_1) | instskip(NEXT) | instid1(VALU_DEP_3)
	v_mad_u64_u32 v[0:1], null, s16, v14, 0
	v_add_f64 v[2:3], v[2:3], v[68:69]
	s_delay_alu instid0(VALU_DEP_1) | instskip(NEXT) | instid1(VALU_DEP_1)
	v_add_f64 v[2:3], v[2:3], v[72:73]
	v_add_f64 v[2:3], v[2:3], v[76:77]
	s_delay_alu instid0(VALU_DEP_1) | instskip(NEXT) | instid1(VALU_DEP_1)
	v_add_f64 v[2:3], v[2:3], v[82:83]
	;; [unrolled: 3-line block ×3, first 2 shown]
	v_add_f64 v[2:3], v[2:3], v[96:97]
	s_delay_alu instid0(VALU_DEP_1)
	v_add_f64 v[11:12], v[2:3], v[78:79]
	v_mad_u64_u32 v[2:3], null, s17, v14, v[1:2]
	ds_store_b128 v238, v[33:36] offset:2992
	ds_store_b128 v238, v[25:28] offset:3264
	;; [unrolled: 1-line block ×7, first 2 shown]
	ds_store_b128 v238, v[9:12]
	v_mov_b32_e32 v1, v2
	v_mul_lo_u16 v2, 0x121, v13
	v_lshlrev_b32_e32 v13, 4, v4
	s_waitcnt lgkmcnt(0)
	s_barrier
	v_lshlrev_b64 v[0:1], 4, v[0:1]
	v_and_b32_e32 v2, 0xffff, v2
	buffer_gl0_inv
	v_lshlrev_b32_e32 v14, 4, v2
	v_lshlrev_b64 v[2:3], 4, v[40:41]
	v_add_co_u32 v30, vcc_lo, s2, v0
	v_add_nc_u32_e32 v40, s0, v40
	s_delay_alu instid0(VALU_DEP_4)
	v_add3_u32 v4, 0, v14, v13
	v_add_co_ci_u32_e32 v31, vcc_lo, s1, v1, vcc_lo
	v_add3_u32 v26, 0, v13, v14
	v_add_co_u32 v18, vcc_lo, v30, v2
	v_lshlrev_b64 v[16:17], 4, v[40:41]
	v_add_nc_u32_e32 v40, s0, v40
	v_add_co_ci_u32_e32 v19, vcc_lo, v31, v3, vcc_lo
	ds_load_b128 v[0:3], v4
	ds_load_b128 v[4:7], v26 offset:272
	ds_load_b128 v[8:11], v26 offset:544
	;; [unrolled: 1-line block ×3, first 2 shown]
	v_lshlrev_b64 v[20:21], 4, v[40:41]
	v_add_nc_u32_e32 v40, s0, v40
	v_add_co_u32 v16, vcc_lo, v30, v16
	v_add_co_ci_u32_e32 v17, vcc_lo, v31, v17, vcc_lo
	s_delay_alu instid0(VALU_DEP_3) | instskip(SKIP_3) | instid1(VALU_DEP_4)
	v_lshlrev_b64 v[22:23], 4, v[40:41]
	v_add_nc_u32_e32 v40, s0, v40
	v_add_co_u32 v20, vcc_lo, v30, v20
	v_add_co_ci_u32_e32 v21, vcc_lo, v31, v21, vcc_lo
	v_add_co_u32 v22, vcc_lo, v30, v22
	s_delay_alu instid0(VALU_DEP_4)
	v_lshlrev_b64 v[24:25], 4, v[40:41]
	v_add_nc_u32_e32 v40, s0, v40
	v_add_co_ci_u32_e32 v23, vcc_lo, v31, v23, vcc_lo
	s_waitcnt lgkmcnt(3)
	global_store_b128 v[18:19], v[0:3], off
	s_waitcnt lgkmcnt(2)
	global_store_b128 v[16:17], v[4:7], off
	;; [unrolled: 2-line block ×4, first 2 shown]
	v_lshlrev_b64 v[16:17], 4, v[40:41]
	v_add_nc_u32_e32 v40, s0, v40
	ds_load_b128 v[0:3], v26 offset:1088
	ds_load_b128 v[4:7], v26 offset:1360
	;; [unrolled: 1-line block ×4, first 2 shown]
	v_add_co_u32 v18, vcc_lo, v30, v24
	v_lshlrev_b64 v[20:21], 4, v[40:41]
	v_add_nc_u32_e32 v40, s0, v40
	v_add_co_ci_u32_e32 v19, vcc_lo, v31, v25, vcc_lo
	v_add_co_u32 v16, vcc_lo, v30, v16
	s_delay_alu instid0(VALU_DEP_3)
	v_lshlrev_b64 v[22:23], 4, v[40:41]
	v_add_nc_u32_e32 v40, s0, v40
	v_add_co_ci_u32_e32 v17, vcc_lo, v31, v17, vcc_lo
	v_add_co_u32 v20, vcc_lo, v30, v20
	v_add_co_ci_u32_e32 v21, vcc_lo, v31, v21, vcc_lo
	v_add_co_u32 v22, vcc_lo, v30, v22
	v_lshlrev_b64 v[24:25], 4, v[40:41]
	v_add_nc_u32_e32 v40, s0, v40
	v_add_co_ci_u32_e32 v23, vcc_lo, v31, v23, vcc_lo
	s_waitcnt lgkmcnt(3)
	global_store_b128 v[18:19], v[0:3], off
	s_waitcnt lgkmcnt(2)
	global_store_b128 v[16:17], v[4:7], off
	;; [unrolled: 2-line block ×4, first 2 shown]
	ds_load_b128 v[0:3], v26 offset:2176
	ds_load_b128 v[4:7], v26 offset:2448
	v_lshlrev_b64 v[16:17], 4, v[40:41]
	v_add_nc_u32_e32 v40, s0, v40
	ds_load_b128 v[8:11], v26 offset:2720
	ds_load_b128 v[12:15], v26 offset:2992
	v_add_co_u32 v18, vcc_lo, v30, v24
	v_add_co_ci_u32_e32 v19, vcc_lo, v31, v25, vcc_lo
	v_lshlrev_b64 v[20:21], 4, v[40:41]
	v_add_nc_u32_e32 v40, s0, v40
	v_add_co_u32 v16, vcc_lo, v30, v16
	v_add_co_ci_u32_e32 v17, vcc_lo, v31, v17, vcc_lo
	s_delay_alu instid0(VALU_DEP_3) | instskip(SKIP_3) | instid1(VALU_DEP_3)
	v_lshlrev_b64 v[22:23], 4, v[40:41]
	v_add_nc_u32_e32 v40, s0, v40
	v_add_co_u32 v20, vcc_lo, v30, v20
	v_add_co_ci_u32_e32 v21, vcc_lo, v31, v21, vcc_lo
	v_lshlrev_b64 v[24:25], 4, v[40:41]
	v_add_nc_u32_e32 v40, s0, v40
	v_add_co_u32 v22, vcc_lo, v30, v22
	v_add_co_ci_u32_e32 v23, vcc_lo, v31, v23, vcc_lo
	s_waitcnt lgkmcnt(3)
	global_store_b128 v[18:19], v[0:3], off
	s_waitcnt lgkmcnt(2)
	global_store_b128 v[16:17], v[4:7], off
	s_waitcnt lgkmcnt(1)
	global_store_b128 v[20:21], v[8:11], off
	s_waitcnt lgkmcnt(0)
	global_store_b128 v[22:23], v[12:15], off
	v_lshlrev_b64 v[8:9], 4, v[40:41]
	v_add_co_u32 v20, vcc_lo, v30, v24
	v_add_nc_u32_e32 v40, s0, v40
	v_add_co_ci_u32_e32 v21, vcc_lo, v31, v25, vcc_lo
	s_delay_alu instid0(VALU_DEP_4)
	v_add_co_u32 v24, vcc_lo, v30, v8
	ds_load_b128 v[0:3], v26 offset:3264
	ds_load_b128 v[4:7], v26 offset:3536
	v_add_co_ci_u32_e32 v25, vcc_lo, v31, v9, vcc_lo
	ds_load_b128 v[8:11], v26 offset:3808
	ds_load_b128 v[12:15], v26 offset:4080
	;; [unrolled: 1-line block ×3, first 2 shown]
	v_lshlrev_b64 v[22:23], 4, v[40:41]
	v_add_nc_u32_e32 v40, s0, v40
	s_delay_alu instid0(VALU_DEP_1) | instskip(SKIP_1) | instid1(VALU_DEP_4)
	v_lshlrev_b64 v[26:27], 4, v[40:41]
	v_add_nc_u32_e32 v40, s0, v40
	v_add_co_u32 v22, vcc_lo, v30, v22
	v_add_co_ci_u32_e32 v23, vcc_lo, v31, v23, vcc_lo
	s_delay_alu instid0(VALU_DEP_3) | instskip(SKIP_2) | instid1(VALU_DEP_3)
	v_lshlrev_b64 v[28:29], 4, v[40:41]
	v_add_co_u32 v26, vcc_lo, v30, v26
	v_add_co_ci_u32_e32 v27, vcc_lo, v31, v27, vcc_lo
	v_add_co_u32 v28, vcc_lo, v30, v28
	s_delay_alu instid0(VALU_DEP_4)
	v_add_co_ci_u32_e32 v29, vcc_lo, v31, v29, vcc_lo
	s_waitcnt lgkmcnt(4)
	global_store_b128 v[20:21], v[0:3], off
	s_waitcnt lgkmcnt(3)
	global_store_b128 v[24:25], v[4:7], off
	;; [unrolled: 2-line block ×5, first 2 shown]
	s_nop 0
	s_sendmsg sendmsg(MSG_DEALLOC_VGPRS)
	s_endpgm
	.section	.rodata,"a",@progbits
	.p2align	6, 0x0
	.amdhsa_kernel fft_rtc_fwd_len289_factors_17_17_wgs_119_tpt_17_dp_op_CI_CI_sbrc_xy_z_diag
		.amdhsa_group_segment_fixed_size 0
		.amdhsa_private_segment_fixed_size 76
		.amdhsa_kernarg_size 104
		.amdhsa_user_sgpr_count 15
		.amdhsa_user_sgpr_dispatch_ptr 0
		.amdhsa_user_sgpr_queue_ptr 0
		.amdhsa_user_sgpr_kernarg_segment_ptr 1
		.amdhsa_user_sgpr_dispatch_id 0
		.amdhsa_user_sgpr_private_segment_size 0
		.amdhsa_wavefront_size32 1
		.amdhsa_uses_dynamic_stack 0
		.amdhsa_enable_private_segment 1
		.amdhsa_system_sgpr_workgroup_id_x 1
		.amdhsa_system_sgpr_workgroup_id_y 0
		.amdhsa_system_sgpr_workgroup_id_z 0
		.amdhsa_system_sgpr_workgroup_info 0
		.amdhsa_system_vgpr_workitem_id 0
		.amdhsa_next_free_vgpr 256
		.amdhsa_next_free_sgpr 65
		.amdhsa_reserve_vcc 1
		.amdhsa_float_round_mode_32 0
		.amdhsa_float_round_mode_16_64 0
		.amdhsa_float_denorm_mode_32 3
		.amdhsa_float_denorm_mode_16_64 3
		.amdhsa_dx10_clamp 1
		.amdhsa_ieee_mode 1
		.amdhsa_fp16_overflow 0
		.amdhsa_workgroup_processor_mode 1
		.amdhsa_memory_ordered 1
		.amdhsa_forward_progress 0
		.amdhsa_shared_vgpr_count 0
		.amdhsa_exception_fp_ieee_invalid_op 0
		.amdhsa_exception_fp_denorm_src 0
		.amdhsa_exception_fp_ieee_div_zero 0
		.amdhsa_exception_fp_ieee_overflow 0
		.amdhsa_exception_fp_ieee_underflow 0
		.amdhsa_exception_fp_ieee_inexact 0
		.amdhsa_exception_int_div_zero 0
	.end_amdhsa_kernel
	.text
.Lfunc_end0:
	.size	fft_rtc_fwd_len289_factors_17_17_wgs_119_tpt_17_dp_op_CI_CI_sbrc_xy_z_diag, .Lfunc_end0-fft_rtc_fwd_len289_factors_17_17_wgs_119_tpt_17_dp_op_CI_CI_sbrc_xy_z_diag
                                        ; -- End function
	.section	.AMDGPU.csdata,"",@progbits
; Kernel info:
; codeLenInByte = 18480
; NumSgprs: 67
; NumVgprs: 256
; ScratchSize: 76
; MemoryBound: 0
; FloatMode: 240
; IeeeMode: 1
; LDSByteSize: 0 bytes/workgroup (compile time only)
; SGPRBlocks: 8
; VGPRBlocks: 31
; NumSGPRsForWavesPerEU: 67
; NumVGPRsForWavesPerEU: 256
; Occupancy: 5
; WaveLimiterHint : 1
; COMPUTE_PGM_RSRC2:SCRATCH_EN: 1
; COMPUTE_PGM_RSRC2:USER_SGPR: 15
; COMPUTE_PGM_RSRC2:TRAP_HANDLER: 0
; COMPUTE_PGM_RSRC2:TGID_X_EN: 1
; COMPUTE_PGM_RSRC2:TGID_Y_EN: 0
; COMPUTE_PGM_RSRC2:TGID_Z_EN: 0
; COMPUTE_PGM_RSRC2:TIDIG_COMP_CNT: 0
	.text
	.p2alignl 7, 3214868480
	.fill 96, 4, 3214868480
	.type	__hip_cuid_8ea2d3e453de3950,@object ; @__hip_cuid_8ea2d3e453de3950
	.section	.bss,"aw",@nobits
	.globl	__hip_cuid_8ea2d3e453de3950
__hip_cuid_8ea2d3e453de3950:
	.byte	0                               ; 0x0
	.size	__hip_cuid_8ea2d3e453de3950, 1

	.ident	"AMD clang version 19.0.0git (https://github.com/RadeonOpenCompute/llvm-project roc-6.4.0 25133 c7fe45cf4b819c5991fe208aaa96edf142730f1d)"
	.section	".note.GNU-stack","",@progbits
	.addrsig
	.addrsig_sym __hip_cuid_8ea2d3e453de3950
	.amdgpu_metadata
---
amdhsa.kernels:
  - .args:
      - .actual_access:  read_only
        .address_space:  global
        .offset:         0
        .size:           8
        .value_kind:     global_buffer
      - .offset:         8
        .size:           8
        .value_kind:     by_value
      - .actual_access:  read_only
        .address_space:  global
        .offset:         16
        .size:           8
        .value_kind:     global_buffer
      - .actual_access:  read_only
        .address_space:  global
        .offset:         24
        .size:           8
        .value_kind:     global_buffer
      - .actual_access:  read_only
        .address_space:  global
        .offset:         32
        .size:           8
        .value_kind:     global_buffer
      - .offset:         40
        .size:           8
        .value_kind:     by_value
      - .actual_access:  read_only
        .address_space:  global
        .offset:         48
        .size:           8
        .value_kind:     global_buffer
      - .actual_access:  read_only
        .address_space:  global
        .offset:         56
        .size:           8
        .value_kind:     global_buffer
      - .offset:         64
        .size:           4
        .value_kind:     by_value
      - .actual_access:  read_only
        .address_space:  global
        .offset:         72
        .size:           8
        .value_kind:     global_buffer
      - .actual_access:  read_only
        .address_space:  global
        .offset:         80
        .size:           8
        .value_kind:     global_buffer
      - .actual_access:  read_only
        .address_space:  global
        .offset:         88
        .size:           8
        .value_kind:     global_buffer
      - .actual_access:  write_only
        .address_space:  global
        .offset:         96
        .size:           8
        .value_kind:     global_buffer
    .group_segment_fixed_size: 0
    .kernarg_segment_align: 8
    .kernarg_segment_size: 104
    .language:       OpenCL C
    .language_version:
      - 2
      - 0
    .max_flat_workgroup_size: 119
    .name:           fft_rtc_fwd_len289_factors_17_17_wgs_119_tpt_17_dp_op_CI_CI_sbrc_xy_z_diag
    .private_segment_fixed_size: 76
    .sgpr_count:     67
    .sgpr_spill_count: 0
    .symbol:         fft_rtc_fwd_len289_factors_17_17_wgs_119_tpt_17_dp_op_CI_CI_sbrc_xy_z_diag.kd
    .uniform_work_group_size: 1
    .uses_dynamic_stack: false
    .vgpr_count:     256
    .vgpr_spill_count: 34
    .wavefront_size: 32
    .workgroup_processor_mode: 1
amdhsa.target:   amdgcn-amd-amdhsa--gfx1100
amdhsa.version:
  - 1
  - 2
...

	.end_amdgpu_metadata
